;; amdgpu-corpus repo=ROCm/rocFFT kind=compiled arch=gfx950 opt=O3
	.text
	.amdgcn_target "amdgcn-amd-amdhsa--gfx950"
	.amdhsa_code_object_version 6
	.protected	fft_rtc_fwd_len3750_factors_3_5_5_10_5_wgs_125_tpt_125_halfLds_dp_op_CI_CI_sbrr_dirReg ; -- Begin function fft_rtc_fwd_len3750_factors_3_5_5_10_5_wgs_125_tpt_125_halfLds_dp_op_CI_CI_sbrr_dirReg
	.globl	fft_rtc_fwd_len3750_factors_3_5_5_10_5_wgs_125_tpt_125_halfLds_dp_op_CI_CI_sbrr_dirReg
	.p2align	8
	.type	fft_rtc_fwd_len3750_factors_3_5_5_10_5_wgs_125_tpt_125_halfLds_dp_op_CI_CI_sbrr_dirReg,@function
fft_rtc_fwd_len3750_factors_3_5_5_10_5_wgs_125_tpt_125_halfLds_dp_op_CI_CI_sbrr_dirReg: ; @fft_rtc_fwd_len3750_factors_3_5_5_10_5_wgs_125_tpt_125_halfLds_dp_op_CI_CI_sbrr_dirReg
; %bb.0:
	s_load_dwordx4 s[12:15], s[0:1], 0x18
	s_load_dwordx4 s[8:11], s[0:1], 0x0
	;; [unrolled: 1-line block ×3, first 2 shown]
	v_mul_u32_u24_e32 v1, 0x20d, v0
	v_add_u32_sdwa v6, s2, v1 dst_sel:DWORD dst_unused:UNUSED_PAD src0_sel:DWORD src1_sel:WORD_1
	s_waitcnt lgkmcnt(0)
	s_load_dwordx2 s[18:19], s[12:13], 0x0
	s_load_dwordx2 s[16:17], s[14:15], 0x0
	v_mov_b32_e32 v2, 0
	v_cmp_lt_u64_e64 s[2:3], s[10:11], 2
	v_mov_b32_e32 v7, v2
	s_and_b64 vcc, exec, s[2:3]
	v_mov_b64_e32 v[4:5], 0
	s_cbranch_vccnz .LBB0_8
; %bb.1:
	s_load_dwordx2 s[2:3], s[0:1], 0x10
	s_add_u32 s20, s14, 8
	s_addc_u32 s21, s15, 0
	s_add_u32 s22, s12, 8
	s_addc_u32 s23, s13, 0
	s_waitcnt lgkmcnt(0)
	s_add_u32 s24, s2, 8
	v_mov_b64_e32 v[4:5], 0
	s_addc_u32 s25, s3, 0
	s_mov_b64 s[26:27], 1
	v_mov_b64_e32 v[130:131], v[4:5]
.LBB0_2:                                ; =>This Inner Loop Header: Depth=1
	s_load_dwordx2 s[28:29], s[24:25], 0x0
                                        ; implicit-def: $vgpr134_vgpr135
	s_waitcnt lgkmcnt(0)
	v_or_b32_e32 v3, s29, v7
	v_cmp_ne_u64_e32 vcc, 0, v[2:3]
	s_and_saveexec_b64 s[2:3], vcc
	s_xor_b64 s[30:31], exec, s[2:3]
	s_cbranch_execz .LBB0_4
; %bb.3:                                ;   in Loop: Header=BB0_2 Depth=1
	v_cvt_f32_u32_e32 v1, s28
	v_cvt_f32_u32_e32 v3, s29
	s_sub_u32 s2, 0, s28
	s_subb_u32 s3, 0, s29
	v_fmac_f32_e32 v1, 0x4f800000, v3
	v_rcp_f32_e32 v1, v1
	s_nop 0
	v_mul_f32_e32 v1, 0x5f7ffffc, v1
	v_mul_f32_e32 v3, 0x2f800000, v1
	v_trunc_f32_e32 v3, v3
	v_fmac_f32_e32 v1, 0xcf800000, v3
	v_cvt_u32_f32_e32 v3, v3
	v_cvt_u32_f32_e32 v1, v1
	v_mul_lo_u32 v8, s2, v3
	v_mul_hi_u32 v10, s2, v1
	v_mul_lo_u32 v9, s3, v1
	v_add_u32_e32 v10, v10, v8
	v_mul_lo_u32 v12, s2, v1
	v_add_u32_e32 v13, v10, v9
	v_mul_hi_u32 v8, v1, v12
	v_mul_hi_u32 v11, v1, v13
	v_mul_lo_u32 v10, v1, v13
	v_mov_b32_e32 v9, v2
	v_lshl_add_u64 v[8:9], v[8:9], 0, v[10:11]
	v_mul_hi_u32 v11, v3, v12
	v_mul_lo_u32 v12, v3, v12
	v_add_co_u32_e32 v8, vcc, v8, v12
	v_mul_hi_u32 v10, v3, v13
	s_nop 0
	v_addc_co_u32_e32 v8, vcc, v9, v11, vcc
	v_mov_b32_e32 v9, v2
	s_nop 0
	v_addc_co_u32_e32 v11, vcc, 0, v10, vcc
	v_mul_lo_u32 v10, v3, v13
	v_lshl_add_u64 v[8:9], v[8:9], 0, v[10:11]
	v_add_co_u32_e32 v1, vcc, v1, v8
	v_mul_lo_u32 v10, s2, v1
	s_nop 0
	v_addc_co_u32_e32 v3, vcc, v3, v9, vcc
	v_mul_lo_u32 v8, s2, v3
	v_mul_hi_u32 v9, s2, v1
	v_add_u32_e32 v8, v9, v8
	v_mul_lo_u32 v9, s3, v1
	v_add_u32_e32 v12, v8, v9
	v_mul_hi_u32 v14, v3, v10
	v_mul_lo_u32 v15, v3, v10
	v_mul_hi_u32 v9, v1, v12
	v_mul_lo_u32 v8, v1, v12
	v_mul_hi_u32 v10, v1, v10
	v_mov_b32_e32 v11, v2
	v_lshl_add_u64 v[8:9], v[10:11], 0, v[8:9]
	v_add_co_u32_e32 v8, vcc, v8, v15
	v_mul_hi_u32 v13, v3, v12
	s_nop 0
	v_addc_co_u32_e32 v8, vcc, v9, v14, vcc
	v_mul_lo_u32 v10, v3, v12
	s_nop 0
	v_addc_co_u32_e32 v11, vcc, 0, v13, vcc
	v_mov_b32_e32 v9, v2
	v_lshl_add_u64 v[8:9], v[8:9], 0, v[10:11]
	v_add_co_u32_e32 v1, vcc, v1, v8
	v_mul_hi_u32 v10, v6, v1
	s_nop 0
	v_addc_co_u32_e32 v3, vcc, v3, v9, vcc
	v_mad_u64_u32 v[8:9], s[2:3], v6, v3, 0
	v_mov_b32_e32 v11, v2
	v_lshl_add_u64 v[8:9], v[10:11], 0, v[8:9]
	v_mad_u64_u32 v[12:13], s[2:3], v7, v1, 0
	v_add_co_u32_e32 v1, vcc, v8, v12
	v_mad_u64_u32 v[10:11], s[2:3], v7, v3, 0
	s_nop 0
	v_addc_co_u32_e32 v8, vcc, v9, v13, vcc
	v_mov_b32_e32 v9, v2
	s_nop 0
	v_addc_co_u32_e32 v11, vcc, 0, v11, vcc
	v_lshl_add_u64 v[8:9], v[8:9], 0, v[10:11]
	v_mul_lo_u32 v1, s29, v8
	v_mul_lo_u32 v3, s28, v9
	v_mad_u64_u32 v[10:11], s[2:3], s28, v8, 0
	v_add3_u32 v1, v11, v3, v1
	v_sub_u32_e32 v3, v7, v1
	v_mov_b32_e32 v11, s29
	v_sub_co_u32_e32 v14, vcc, v6, v10
	v_lshl_add_u64 v[12:13], v[8:9], 0, 1
	s_nop 0
	v_subb_co_u32_e64 v3, s[2:3], v3, v11, vcc
	v_subrev_co_u32_e64 v10, s[2:3], s28, v14
	v_subb_co_u32_e32 v1, vcc, v7, v1, vcc
	s_nop 0
	v_subbrev_co_u32_e64 v3, s[2:3], 0, v3, s[2:3]
	v_cmp_le_u32_e64 s[2:3], s29, v3
	v_cmp_le_u32_e32 vcc, s29, v1
	s_nop 0
	v_cndmask_b32_e64 v11, 0, -1, s[2:3]
	v_cmp_le_u32_e64 s[2:3], s28, v10
	s_nop 1
	v_cndmask_b32_e64 v10, 0, -1, s[2:3]
	v_cmp_eq_u32_e64 s[2:3], s29, v3
	s_nop 1
	v_cndmask_b32_e64 v3, v11, v10, s[2:3]
	v_lshl_add_u64 v[10:11], v[8:9], 0, 2
	v_cmp_ne_u32_e64 s[2:3], 0, v3
	s_nop 1
	v_cndmask_b32_e64 v3, v13, v11, s[2:3]
	v_cndmask_b32_e64 v11, 0, -1, vcc
	v_cmp_le_u32_e32 vcc, s28, v14
	s_nop 1
	v_cndmask_b32_e64 v13, 0, -1, vcc
	v_cmp_eq_u32_e32 vcc, s29, v1
	s_nop 1
	v_cndmask_b32_e32 v1, v11, v13, vcc
	v_cmp_ne_u32_e32 vcc, 0, v1
	v_cndmask_b32_e64 v1, v12, v10, s[2:3]
	s_nop 0
	v_cndmask_b32_e32 v135, v9, v3, vcc
	v_cndmask_b32_e32 v134, v8, v1, vcc
.LBB0_4:                                ;   in Loop: Header=BB0_2 Depth=1
	s_andn2_saveexec_b64 s[2:3], s[30:31]
	s_cbranch_execz .LBB0_6
; %bb.5:                                ;   in Loop: Header=BB0_2 Depth=1
	v_cvt_f32_u32_e32 v1, s28
	s_sub_i32 s30, 0, s28
	v_mov_b32_e32 v135, v2
	v_rcp_iflag_f32_e32 v1, v1
	s_nop 0
	v_mul_f32_e32 v1, 0x4f7ffffe, v1
	v_cvt_u32_f32_e32 v1, v1
	v_mul_lo_u32 v3, s30, v1
	v_mul_hi_u32 v3, v1, v3
	v_add_u32_e32 v1, v1, v3
	v_mul_hi_u32 v1, v6, v1
	v_mul_lo_u32 v3, v1, s28
	v_sub_u32_e32 v3, v6, v3
	v_add_u32_e32 v8, 1, v1
	v_subrev_u32_e32 v9, s28, v3
	v_cmp_le_u32_e32 vcc, s28, v3
	s_nop 1
	v_cndmask_b32_e32 v3, v3, v9, vcc
	v_cndmask_b32_e32 v1, v1, v8, vcc
	v_add_u32_e32 v8, 1, v1
	v_cmp_le_u32_e32 vcc, s28, v3
	s_nop 1
	v_cndmask_b32_e32 v134, v1, v8, vcc
.LBB0_6:                                ;   in Loop: Header=BB0_2 Depth=1
	s_or_b64 exec, exec, s[2:3]
	v_mad_u64_u32 v[8:9], s[2:3], v134, s28, 0
	s_load_dwordx2 s[2:3], s[22:23], 0x0
	v_mul_lo_u32 v1, v135, s28
	v_mul_lo_u32 v3, v134, s29
	s_load_dwordx2 s[28:29], s[20:21], 0x0
	s_add_u32 s26, s26, 1
	v_add3_u32 v1, v9, v3, v1
	v_sub_co_u32_e32 v3, vcc, v6, v8
	s_addc_u32 s27, s27, 0
	s_nop 0
	v_subb_co_u32_e32 v1, vcc, v7, v1, vcc
	s_add_u32 s20, s20, 8
	s_waitcnt lgkmcnt(0)
	v_mul_lo_u32 v6, s2, v1
	v_mul_lo_u32 v7, s3, v3
	v_mad_u64_u32 v[4:5], s[2:3], s2, v3, v[4:5]
	s_addc_u32 s21, s21, 0
	v_add3_u32 v5, v7, v5, v6
	v_mul_lo_u32 v1, s28, v1
	v_mul_lo_u32 v6, s29, v3
	v_mad_u64_u32 v[130:131], s[2:3], s28, v3, v[130:131]
	s_add_u32 s22, s22, 8
	v_add3_u32 v131, v6, v131, v1
	s_addc_u32 s23, s23, 0
	v_mov_b64_e32 v[6:7], s[10:11]
	s_add_u32 s24, s24, 8
	v_cmp_ge_u64_e32 vcc, s[26:27], v[6:7]
	s_addc_u32 s25, s25, 0
	s_cbranch_vccnz .LBB0_9
; %bb.7:                                ;   in Loop: Header=BB0_2 Depth=1
	v_mov_b64_e32 v[6:7], v[134:135]
	s_branch .LBB0_2
.LBB0_8:
	v_mov_b64_e32 v[130:131], v[4:5]
	v_mov_b64_e32 v[134:135], v[6:7]
.LBB0_9:
	s_load_dwordx2 s[0:1], s[0:1], 0x28
	s_lshl_b64 s[10:11], s[10:11], 3
	s_add_u32 s2, s14, s10
	s_addc_u32 s3, s15, s11
                                        ; implicit-def: $vgpr132_vgpr133
                                        ; implicit-def: $vgpr172
                                        ; implicit-def: $vgpr173
                                        ; implicit-def: $vgpr174
                                        ; implicit-def: $vgpr184
                                        ; implicit-def: $vgpr52
                                        ; implicit-def: $vgpr206
	s_waitcnt lgkmcnt(0)
	v_cmp_gt_u64_e32 vcc, s[0:1], v[134:135]
	v_cmp_le_u64_e64 s[0:1], s[0:1], v[134:135]
	s_and_saveexec_b64 s[14:15], s[0:1]
	s_xor_b64 s[0:1], exec, s[14:15]
; %bb.10:
	s_mov_b32 s14, 0x20c49bb
	v_mul_hi_u32 v1, v0, s14
	v_mul_u32_u24_e32 v1, 0x7d, v1
	v_sub_u32_e32 v172, v0, v1
	v_add_u32_e32 v173, 0x7d, v172
	v_add_u32_e32 v174, 0xfa, v172
	;; [unrolled: 1-line block ×7, first 2 shown]
                                        ; implicit-def: $vgpr0
                                        ; implicit-def: $vgpr4_vgpr5
; %bb.11:
	s_or_saveexec_b64 s[0:1], s[0:1]
                                        ; implicit-def: $vgpr6_vgpr7
                                        ; implicit-def: $vgpr2_vgpr3
                                        ; implicit-def: $vgpr20_vgpr21
                                        ; implicit-def: $vgpr14_vgpr15
                                        ; implicit-def: $vgpr10_vgpr11
                                        ; implicit-def: $vgpr24_vgpr25
                                        ; implicit-def: $vgpr72_vgpr73
                                        ; implicit-def: $vgpr50_vgpr51
                                        ; implicit-def: $vgpr36_vgpr37
                                        ; implicit-def: $vgpr80_vgpr81
                                        ; implicit-def: $vgpr76_vgpr77
                                        ; implicit-def: $vgpr32_vgpr33
                                        ; implicit-def: $vgpr88_vgpr89
                                        ; implicit-def: $vgpr84_vgpr85
                                        ; implicit-def: $vgpr42_vgpr43
                                        ; implicit-def: $vgpr96_vgpr97
                                        ; implicit-def: $vgpr92_vgpr93
                                        ; implicit-def: $vgpr28_vgpr29
                                        ; implicit-def: $vgpr104_vgpr105
                                        ; implicit-def: $vgpr100_vgpr101
                                        ; implicit-def: $vgpr46_vgpr47
                                        ; implicit-def: $vgpr112_vgpr113
                                        ; implicit-def: $vgpr108_vgpr109
                                        ; implicit-def: $vgpr56_vgpr57
                                        ; implicit-def: $vgpr124_vgpr125
                                        ; implicit-def: $vgpr120_vgpr121
                                        ; implicit-def: $vgpr68_vgpr69
                                        ; implicit-def: $vgpr128_vgpr129
                                        ; implicit-def: $vgpr116_vgpr117
                                        ; implicit-def: $vgpr62_vgpr63
	s_xor_b64 exec, exec, s[0:1]
	s_cbranch_execz .LBB0_13
; %bb.12:
	s_add_u32 s10, s12, s10
	s_addc_u32 s11, s13, s11
	s_load_dwordx2 s[10:11], s[10:11], 0x0
	s_mov_b32 s12, 0x20c49bb
	s_waitcnt lgkmcnt(0)
	v_mul_lo_u32 v1, s11, v134
	v_mul_lo_u32 v6, s10, v135
	v_mad_u64_u32 v[2:3], s[10:11], s10, v134, 0
	v_add3_u32 v3, v3, v6, v1
	v_mul_hi_u32 v1, v0, s12
	v_mul_u32_u24_e32 v1, 0x7d, v1
	v_sub_u32_e32 v172, v0, v1
	v_mad_u64_u32 v[6:7], s[10:11], s18, v172, 0
	v_mov_b32_e32 v0, v7
	v_mad_u64_u32 v[0:1], s[10:11], s19, v172, v[0:1]
	v_mov_b32_e32 v7, v0
	v_lshl_add_u64 v[0:1], v[2:3], 4, s[4:5]
	v_lshl_add_u64 v[0:1], v[4:5], 4, v[0:1]
	;; [unrolled: 1-line block ×3, first 2 shown]
	v_add_u32_e32 v7, 0x4e2, v172
	v_mad_u64_u32 v[4:5], s[4:5], s18, v7, 0
	v_mov_b32_e32 v6, v5
	v_mad_u64_u32 v[6:7], s[4:5], s19, v7, v[6:7]
	v_add_u32_e32 v9, 0x9c4, v172
	v_mov_b32_e32 v5, v6
	v_mad_u64_u32 v[6:7], s[4:5], s18, v9, 0
	v_mov_b32_e32 v8, v7
	v_mad_u64_u32 v[8:9], s[4:5], s19, v9, v[8:9]
	v_add_u32_e32 v173, 0x7d, v172
	v_mov_b32_e32 v7, v8
	;; [unrolled: 5-line block ×10, first 2 shown]
	v_mad_u64_u32 v[24:25], s[4:5], s18, v132, 0
	v_mov_b32_e32 v26, v25
	v_add_u32_e32 v133, 0x1f4, v172
	v_mad_u64_u32 v[26:27], s[4:5], s19, v132, v[26:27]
	v_mov_b32_e32 v25, v26
	v_mad_u64_u32 v[26:27], s[4:5], s18, v133, 0
	v_mov_b32_e32 v28, v27
	v_mad_u64_u32 v[28:29], s[4:5], s19, v133, v[28:29]
	v_add_u32_e32 v31, 0x6d6, v172
	v_mov_b32_e32 v27, v28
	v_mad_u64_u32 v[28:29], s[4:5], s18, v31, 0
	v_mov_b32_e32 v30, v29
	v_mad_u64_u32 v[30:31], s[4:5], s19, v31, v[30:31]
	v_add_u32_e32 v33, 0xbb8, v172
	v_mov_b32_e32 v29, v30
	v_mad_u64_u32 v[30:31], s[4:5], s18, v33, 0
	v_mov_b32_e32 v32, v31
	v_mad_u64_u32 v[32:33], s[4:5], s19, v33, v[32:33]
	v_add_u32_e32 v184, 0x271, v172
	v_mov_b32_e32 v31, v32
	v_mad_u64_u32 v[32:33], s[4:5], s18, v184, 0
	v_mov_b32_e32 v34, v33
	v_mad_u64_u32 v[34:35], s[4:5], s19, v184, v[34:35]
	v_add_u32_e32 v37, 0x753, v172
	v_mov_b32_e32 v33, v34
	v_mad_u64_u32 v[34:35], s[4:5], s18, v37, 0
	v_mov_b32_e32 v36, v35
	v_mad_u64_u32 v[36:37], s[4:5], s19, v37, v[36:37]
	v_add_u32_e32 v39, 0xc35, v172
	v_mov_b32_e32 v35, v36
	v_mad_u64_u32 v[36:37], s[4:5], s18, v39, 0
	v_mov_b32_e32 v38, v37
	v_mad_u64_u32 v[38:39], s[4:5], s19, v39, v[38:39]
	v_add_u32_e32 v52, 0x2ee, v172
	v_mov_b32_e32 v37, v38
	v_mad_u64_u32 v[38:39], s[4:5], s18, v52, 0
	v_mov_b32_e32 v40, v39
	v_mad_u64_u32 v[40:41], s[4:5], s19, v52, v[40:41]
	v_add_u32_e32 v43, 0x7d0, v172
	v_mov_b32_e32 v39, v40
	v_mad_u64_u32 v[40:41], s[4:5], s18, v43, 0
	v_mov_b32_e32 v42, v41
	v_mad_u64_u32 v[42:43], s[4:5], s19, v43, v[42:43]
	v_add_u32_e32 v45, 0xcb2, v172
	v_mov_b32_e32 v41, v42
	v_mad_u64_u32 v[42:43], s[4:5], s18, v45, 0
	v_mov_b32_e32 v44, v43
	v_mad_u64_u32 v[44:45], s[4:5], s19, v45, v[44:45]
	v_add_u32_e32 v47, 0x36b, v172
	v_mov_b32_e32 v43, v44
	v_mad_u64_u32 v[44:45], s[4:5], s18, v47, 0
	v_mov_b32_e32 v46, v45
	v_mad_u64_u32 v[46:47], s[4:5], s19, v47, v[46:47]
	v_add_u32_e32 v49, 0x84d, v172
	v_mov_b32_e32 v45, v46
	v_mad_u64_u32 v[46:47], s[4:5], s18, v49, 0
	v_mov_b32_e32 v48, v47
	v_mad_u64_u32 v[48:49], s[4:5], s19, v49, v[48:49]
	v_add_u32_e32 v51, 0xd2f, v172
	v_mov_b32_e32 v47, v48
	v_mad_u64_u32 v[48:49], s[4:5], s18, v51, 0
	v_mov_b32_e32 v50, v49
	v_mad_u64_u32 v[50:51], s[4:5], s19, v51, v[50:51]
	v_add_u32_e32 v53, 0x3e8, v172
	v_mov_b32_e32 v49, v50
	v_mad_u64_u32 v[50:51], s[4:5], s18, v53, 0
	v_mov_b32_e32 v54, v51
	v_mad_u64_u32 v[54:55], s[4:5], s19, v53, v[54:55]
	v_add_u32_e32 v53, 0x8ca, v172
	v_mov_b32_e32 v51, v54
	v_mad_u64_u32 v[54:55], s[4:5], s18, v53, 0
	v_mov_b32_e32 v56, v55
	v_mad_u64_u32 v[56:57], s[4:5], s19, v53, v[56:57]
	v_add_u32_e32 v53, 0xdac, v172
	v_mov_b32_e32 v55, v56
	v_mad_u64_u32 v[56:57], s[4:5], s18, v53, 0
	v_mov_b32_e32 v58, v57
	v_mad_u64_u32 v[58:59], s[4:5], s19, v53, v[58:59]
	v_add_u32_e32 v206, 0x465, v172
	v_mov_b32_e32 v57, v58
	v_mad_u64_u32 v[58:59], s[4:5], s18, v206, 0
	v_mov_b32_e32 v60, v59
	v_add_u32_e32 v53, 0x947, v172
	v_mad_u64_u32 v[60:61], s[4:5], s19, v206, v[60:61]
	v_mad_u64_u32 v[64:65], s[4:5], s18, v53, 0
	v_mov_b32_e32 v59, v60
	v_mov_b32_e32 v60, v65
	v_mad_u64_u32 v[60:61], s[4:5], s19, v53, v[60:61]
	v_add_u32_e32 v53, 0xe29, v172
	v_mad_u64_u32 v[66:67], s[4:5], s18, v53, 0
	v_mov_b32_e32 v65, v60
	v_mov_b32_e32 v60, v67
	v_lshl_add_u64 v[4:5], v[4:5], 4, v[0:1]
	v_mad_u64_u32 v[60:61], s[4:5], s19, v53, v[60:61]
	v_mov_b32_e32 v67, v60
	global_load_dwordx4 v[60:63], v[2:3], off
	global_load_dwordx4 v[114:117], v[4:5], off
	v_lshl_add_u64 v[2:3], v[6:7], 4, v[0:1]
	v_lshl_add_u64 v[4:5], v[8:9], 4, v[0:1]
	;; [unrolled: 1-line block ×28, first 2 shown]
	global_load_dwordx4 v[126:129], v[2:3], off
	global_load_dwordx4 v[66:69], v[4:5], off
	;; [unrolled: 1-line block ×13, first 2 shown]
                                        ; kill: killed $vgpr16_vgpr17
                                        ; kill: killed $vgpr30_vgpr31
                                        ; kill: killed $vgpr4_vgpr5
                                        ; kill: killed $vgpr14_vgpr15
                                        ; kill: killed $vgpr2_vgpr3
                                        ; kill: killed $vgpr24_vgpr25
                                        ; kill: killed $vgpr12_vgpr13
                                        ; kill: killed $vgpr8_vgpr9
                                        ; kill: killed $vgpr22_vgpr23
                                        ; kill: killed $vgpr18_vgpr19
                                        ; kill: killed $vgpr20_vgpr21
                                        ; kill: killed $vgpr10_vgpr11
                                        ; kill: killed $vgpr6_vgpr7
	global_load_dwordx4 v[40:43], v[70:71], off
	global_load_dwordx4 v[82:85], v[34:35], off
	;; [unrolled: 1-line block ×3, first 2 shown]
	s_nop 0
	global_load_dwordx4 v[30:33], v[38:39], off
	global_load_dwordx4 v[74:77], v[72:73], off
	;; [unrolled: 1-line block ×3, first 2 shown]
                                        ; kill: killed $vgpr38_vgpr39
                                        ; kill: killed $vgpr34_vgpr35
                                        ; kill: killed $vgpr70_vgpr71
                                        ; kill: killed $vgpr136_vgpr137
                                        ; kill: killed $vgpr72_vgpr73
                                        ; kill: killed $vgpr36_vgpr37
	global_load_dwordx4 v[34:37], v[138:139], off
	global_load_dwordx4 v[48:51], v[140:141], off
	s_nop 0
	global_load_dwordx4 v[70:73], v[142:143], off
                                        ; kill: killed $vgpr138_vgpr139
                                        ; kill: killed $vgpr142_vgpr143
                                        ; kill: killed $vgpr140_vgpr141
	global_load_dwordx4 v[22:25], v[144:145], off
	global_load_dwordx4 v[8:11], v[146:147], off
                                        ; kill: killed $vgpr146_vgpr147
                                        ; kill: killed $vgpr144_vgpr145
	global_load_dwordx4 v[12:15], v[148:149], off
	global_load_dwordx4 v[18:21], v[58:59], off
	;; [unrolled: 1-line block ×4, first 2 shown]
.LBB0_13:
	s_or_b64 exec, exec, s[0:1]
	s_waitcnt vmcnt(27)
	v_add_f64 v[38:39], v[126:127], v[114:115]
	s_mov_b32 s0, 0xe8584caa
	v_add_f64 v[16:17], v[114:115], v[60:61]
	v_fmac_f64_e32 v[60:61], -0.5, v[38:39]
	v_add_f64 v[58:59], v[116:117], -v[128:129]
	s_mov_b32 s1, 0x3febb67a
	s_mov_b32 s5, 0xbfebb67a
	;; [unrolled: 1-line block ×3, first 2 shown]
	v_fma_f64 v[38:39], s[0:1], v[58:59], v[60:61]
	v_fmac_f64_e32 v[60:61], s[4:5], v[58:59]
	v_add_f64 v[58:59], v[116:117], v[62:63]
	v_add_f64 v[136:137], v[128:129], v[58:59]
	;; [unrolled: 1-line block ×3, first 2 shown]
	s_waitcnt vmcnt(24)
	v_add_f64 v[64:65], v[122:123], v[118:119]
	v_fmac_f64_e32 v[62:63], -0.5, v[58:59]
	v_add_f64 v[58:59], v[118:119], v[66:67]
	v_fmac_f64_e32 v[66:67], -0.5, v[64:65]
	v_add_f64 v[64:65], v[120:121], -v[124:125]
	v_add_f64 v[58:59], v[122:123], v[58:59]
	v_fma_f64 v[142:143], s[0:1], v[64:65], v[66:67]
	v_fmac_f64_e32 v[66:67], s[4:5], v[64:65]
	v_add_f64 v[64:65], v[120:121], v[68:69]
	v_add_f64 v[118:119], v[118:119], -v[122:123]
	s_waitcnt vmcnt(21)
	v_add_f64 v[122:123], v[110:111], v[106:107]
	v_add_f64 v[116:117], v[124:125], v[64:65]
	v_add_f64 v[64:65], v[106:107], v[54:55]
	v_fmac_f64_e32 v[54:55], -0.5, v[122:123]
	v_add_f64 v[122:123], v[108:109], -v[112:113]
	v_fma_f64 v[144:145], s[0:1], v[122:123], v[54:55]
	v_fmac_f64_e32 v[54:55], s[4:5], v[122:123]
	v_add_f64 v[122:123], v[108:109], v[56:57]
	v_add_f64 v[138:139], v[112:113], v[108:109]
	s_waitcnt vmcnt(19)
	v_add_f64 v[108:109], v[102:103], v[98:99]
	v_add_f64 v[120:121], v[124:125], v[120:121]
	v_add_f64 v[124:125], v[106:107], -v[110:111]
	s_waitcnt vmcnt(18)
	v_add_f64 v[106:107], v[98:99], v[44:45]
	v_fmac_f64_e32 v[44:45], -0.5, v[108:109]
	v_add_f64 v[108:109], v[100:101], -v[104:105]
	v_add_f64 v[16:17], v[126:127], v[16:17]
	v_add_f64 v[114:115], v[114:115], -v[126:127]
	v_fma_f64 v[146:147], s[0:1], v[108:109], v[44:45]
	v_fmac_f64_e32 v[44:45], s[4:5], v[108:109]
	v_add_f64 v[108:109], v[100:101], v[46:47]
	v_add_f64 v[126:127], v[104:105], v[100:101]
	v_add_f64 v[128:129], v[98:99], -v[102:103]
	s_waitcnt vmcnt(16)
	v_add_f64 v[98:99], v[90:91], v[26:27]
	s_waitcnt vmcnt(15)
	v_add_f64 v[100:101], v[94:95], v[90:91]
	v_add_f64 v[140:141], v[90:91], -v[94:95]
	s_waitcnt vmcnt(13)
	v_add_f64 v[90:91], v[82:83], v[40:41]
	v_add_f64 v[98:99], v[94:95], v[98:99]
	v_fmac_f64_e32 v[26:27], -0.5, v[100:101]
	v_add_f64 v[100:101], v[92:93], -v[96:97]
	s_waitcnt vmcnt(12)
	v_add_f64 v[94:95], v[86:87], v[90:91]
	v_add_f64 v[90:91], v[86:87], v[82:83]
	;; [unrolled: 1-line block ×3, first 2 shown]
	v_fma_f64 v[102:103], s[0:1], v[100:101], v[26:27]
	v_fmac_f64_e32 v[26:27], s[4:5], v[100:101]
	v_add_f64 v[100:101], v[92:93], v[28:29]
	v_fmac_f64_e32 v[40:41], -0.5, v[90:91]
	v_add_f64 v[90:91], v[84:85], -v[88:89]
	v_add_f64 v[122:123], v[112:113], v[122:123]
	v_add_f64 v[112:113], v[96:97], v[100:101]
	;; [unrolled: 1-line block ×3, first 2 shown]
	v_fma_f64 v[96:97], s[0:1], v[90:91], v[40:41]
	v_fmac_f64_e32 v[40:41], s[4:5], v[90:91]
	v_add_f64 v[90:91], v[84:85], v[42:43]
	v_add_f64 v[86:87], v[82:83], -v[86:87]
	s_waitcnt vmcnt(10)
	v_add_f64 v[82:83], v[74:75], v[30:31]
	v_add_f64 v[90:91], v[88:89], v[90:91]
	;; [unrolled: 1-line block ×3, first 2 shown]
	s_waitcnt vmcnt(9)
	v_add_f64 v[88:89], v[78:79], v[82:83]
	v_add_f64 v[82:83], v[78:79], v[74:75]
	v_add_f64 v[78:79], v[74:75], -v[78:79]
	s_waitcnt vmcnt(7)
	v_add_f64 v[74:75], v[48:49], v[34:35]
	v_add_f64 v[64:65], v[110:111], v[64:65]
	;; [unrolled: 1-line block ×3, first 2 shown]
	s_waitcnt vmcnt(6)
	v_add_f64 v[104:105], v[70:71], v[74:75]
	v_add_f64 v[74:75], v[70:71], v[48:49]
	v_fmac_f64_e32 v[34:35], -0.5, v[74:75]
	v_add_f64 v[74:75], v[50:51], -v[72:73]
	v_fma_f64 v[108:109], s[0:1], v[74:75], v[34:35]
	v_fmac_f64_e32 v[34:35], s[4:5], v[74:75]
	v_add_f64 v[74:75], v[50:51], v[36:37]
	v_add_f64 v[148:149], v[72:73], v[50:51]
	s_waitcnt vmcnt(3)
	v_add_f64 v[50:51], v[12:13], v[8:9]
	v_fmac_f64_e32 v[30:31], -0.5, v[82:83]
	v_add_f64 v[82:83], v[76:77], -v[80:81]
	v_add_f64 v[150:151], v[48:49], -v[70:71]
	v_add_f64 v[48:49], v[8:9], v[22:23]
	v_fmac_f64_e32 v[22:23], -0.5, v[50:51]
	v_add_f64 v[50:51], v[10:11], -v[14:15]
	v_fma_f64 v[100:101], s[0:1], v[82:83], v[30:31]
	v_fma_f64 v[70:71], s[0:1], v[50:51], v[22:23]
	v_fmac_f64_e32 v[22:23], s[4:5], v[50:51]
	v_add_f64 v[50:51], v[10:11], v[24:25]
	v_add_f64 v[152:153], v[14:15], v[10:11]
	s_waitcnt vmcnt(0)
	v_add_f64 v[10:11], v[4:5], v[0:1]
	v_mad_u32_u24 v162, v172, 24, 0
	v_mad_i32_i24 v176, v173, 24, 0
	v_mad_i32_i24 v177, v174, 24, 0
	v_mad_i32_i24 v178, v132, 24, 0
	v_mad_i32_i24 v183, v133, 24, 0
	v_mad_i32_i24 v189, v184, 24, 0
	v_mad_i32_i24 v175, v52, 24, 0
	s_load_dwordx2 s[2:3], s[2:3], 0x0
	v_fmac_f64_e32 v[30:31], s[4:5], v[82:83]
	v_add_f64 v[48:49], v[12:13], v[48:49]
	v_add_f64 v[154:155], v[8:9], -v[12:13]
	v_add_f64 v[8:9], v[0:1], v[18:19]
	v_fmac_f64_e32 v[18:19], -0.5, v[10:11]
	v_add_f64 v[10:11], v[2:3], -v[6:7]
	ds_write2_b64 v162, v[16:17], v[38:39] offset1:1
	ds_write_b64 v162, v[60:61] offset:16
	ds_write2_b64 v176, v[58:59], v[142:143] offset1:1
	ds_write_b64 v176, v[66:67] offset:16
	;; [unrolled: 2-line block ×7, first 2 shown]
	v_add_u32_e32 v88, 0x5208, v162
	v_add_u32_e32 v89, 0x5dc0, v162
	v_lshl_add_u32 v190, v172, 3, 0
	v_lshlrev_b32_e32 v196, 4, v174
	v_add_f64 v[82:83], v[76:77], v[32:33]
	v_add_f64 v[8:9], v[4:5], v[8:9]
	v_fma_f64 v[12:13], s[0:1], v[10:11], v[18:19]
	v_fmac_f64_e32 v[18:19], s[4:5], v[10:11]
	v_add_f64 v[10:11], v[2:3], v[20:21]
	ds_write2_b64 v88, v[104:105], v[108:109] offset1:1
	ds_write_b64 v162, v[34:35] offset:21016
	ds_write2_b64 v89, v[48:49], v[70:71] offset1:1
	ds_write_b64 v162, v[22:23] offset:24016
	v_mad_i32_i24 v142, v206, 24, 0
	v_lshlrev_b32_e32 v194, 4, v52
	v_add_u32_e32 v192, 0x2800, v190
	v_lshlrev_b32_e32 v195, 4, v173
	v_sub_u32_e32 v202, v177, v196
	v_lshlrev_b32_e32 v197, 4, v132
	v_lshlrev_b32_e32 v198, 4, v133
	;; [unrolled: 1-line block ×3, first 2 shown]
	v_fma_f64 v[22:23], s[4:5], v[114:115], v[62:63]
	v_fmac_f64_e32 v[68:69], -0.5, v[120:121]
	v_add_f64 v[82:83], v[80:81], v[82:83]
	v_add_f64 v[76:77], v[80:81], v[76:77]
	;; [unrolled: 1-line block ×6, first 2 shown]
	v_add_f64 v[160:161], v[0:1], -v[4:5]
	ds_write2_b64 v142, v[8:9], v[12:13] offset1:1
	ds_write_b64 v142, v[18:19] offset:16
	s_waitcnt lgkmcnt(0)
	s_barrier
	ds_read_b64 v[102:103], v190
	v_sub_u32_e32 v200, v175, v194
	ds_read2_b64 v[0:3], v192 offset0:95 offset1:220
	v_add_u32_e32 v193, 0x4000, v190
	v_add_u32_e32 v191, 0x5800, v190
	v_sub_u32_e32 v201, v176, v195
	v_add_u32_e32 v179, 0x1800, v190
	v_add_u32_e32 v182, 0x3000, v190
	;; [unrolled: 1-line block ×4, first 2 shown]
	v_sub_u32_e32 v203, v178, v197
	v_add_u32_e32 v186, 0x2000, v190
	v_add_u32_e32 v188, 0x3800, v190
	;; [unrolled: 1-line block ×4, first 2 shown]
	v_sub_u32_e32 v204, v183, v198
	v_sub_u32_e32 v205, v189, v199
	ds_read_b64 v[100:101], v202
	ds_read_b64 v[98:99], v203
	;; [unrolled: 1-line block ×6, first 2 shown]
	ds_read_b64 v[106:107], v190 offset:29000
	ds_read2_b64 v[8:11], v193 offset0:77 offset1:202
	ds_read2_b64 v[4:7], v191 offset0:59 offset1:184
	;; [unrolled: 1-line block ×10, first 2 shown]
	s_waitcnt lgkmcnt(0)
	s_barrier
	ds_write2_b64 v162, v[136:137], v[22:23] offset1:1
	v_fmac_f64_e32 v[62:63], s[0:1], v[114:115]
	v_fma_f64 v[22:23], s[4:5], v[118:119], v[68:69]
	v_fmac_f64_e32 v[56:57], -0.5, v[138:139]
	ds_write_b64 v162, v[62:63] offset:16
	ds_write2_b64 v176, v[116:117], v[22:23] offset1:1
	v_fmac_f64_e32 v[68:69], s[0:1], v[118:119]
	v_fma_f64 v[22:23], s[4:5], v[124:125], v[56:57]
	v_fmac_f64_e32 v[56:57], s[0:1], v[124:125]
	v_fmac_f64_e32 v[46:47], -0.5, v[126:127]
	v_fmac_f64_e32 v[28:29], -0.5, v[92:93]
	;; [unrolled: 1-line block ×7, first 2 shown]
	ds_write_b64 v176, v[68:69] offset:16
	ds_write2_b64 v177, v[122:123], v[22:23] offset1:1
	ds_write_b64 v177, v[56:57] offset:16
	v_fma_f64 v[22:23], s[4:5], v[128:129], v[46:47]
	v_fmac_f64_e32 v[46:47], s[0:1], v[128:129]
	v_fma_f64 v[26:27], s[4:5], v[140:141], v[28:29]
	v_fmac_f64_e32 v[28:29], s[0:1], v[140:141]
	;; [unrolled: 2-line block ×7, first 2 shown]
	s_movk_i32 s0, 0xab
	ds_write2_b64 v178, v[110:111], v[22:23] offset1:1
	ds_write_b64 v178, v[46:47] offset:16
	ds_write2_b64 v183, v[112:113], v[26:27] offset1:1
	ds_write_b64 v183, v[28:29] offset:16
	;; [unrolled: 2-line block ×7, first 2 shown]
	v_mul_lo_u16_sdwa v20, v173, s0 dst_sel:DWORD dst_unused:UNUSED_PAD src0_sel:BYTE_0 src1_sel:DWORD
	v_lshrrev_b16_e32 v36, 9, v20
	v_mul_lo_u16_e32 v20, 3, v36
	v_mov_b32_e32 v208, 6
	v_sub_u16_e32 v37, v173, v20
	v_lshlrev_b32_sdwa v28, v208, v37 dst_sel:DWORD dst_unused:UNUSED_PAD src0_sel:DWORD src1_sel:BYTE_0
	s_waitcnt lgkmcnt(0)
	s_barrier
	global_load_dwordx4 v[42:45], v28, s[8:9]
	global_load_dwordx4 v[20:23], v28, s[8:9] offset:16
	s_mov_b32 s1, 0xaaab
	v_mul_u32_u24_sdwa v24, v174, s1 dst_sel:DWORD dst_unused:UNUSED_PAD src0_sel:WORD_0 src1_sel:DWORD
	v_lshrrev_b32_e32 v209, 17, v24
	v_mul_lo_u16_e32 v24, 3, v209
	v_sub_u16_e32 v210, v174, v24
	v_lshlrev_b32_e32 v29, 6, v210
	global_load_dwordx4 v[82:85], v29, s[8:9]
	global_load_dwordx4 v[78:81], v29, s[8:9] offset:16
	global_load_dwordx4 v[74:77], v28, s[8:9] offset:32
	;; [unrolled: 1-line block ×4, first 2 shown]
	s_nop 0
	global_load_dwordx4 v[28:31], v29, s[8:9] offset:48
	v_mul_u32_u24_sdwa v46, v132, s1 dst_sel:DWORD dst_unused:UNUSED_PAD src0_sel:WORD_0 src1_sel:DWORD
	v_lshrrev_b32_e32 v213, 17, v46
	v_mul_lo_u16_e32 v46, 3, v213
	v_sub_u16_e32 v212, v132, v46
	v_lshlrev_b32_e32 v56, 6, v212
	global_load_dwordx4 v[86:89], v56, s[8:9]
	v_mul_u32_u24_sdwa v46, v133, s1 dst_sel:DWORD dst_unused:UNUSED_PAD src0_sel:WORD_0 src1_sel:DWORD
	v_lshrrev_b32_e32 v214, 17, v46
	v_mul_lo_u16_e32 v46, 3, v214
	v_sub_u16_e32 v211, v133, v46
	v_lshlrev_b32_e32 v57, 6, v211
	global_load_dwordx4 v[90:93], v57, s[8:9]
	global_load_dwordx4 v[112:115], v56, s[8:9] offset:16
	global_load_dwordx4 v[138:141], v57, s[8:9] offset:16
	global_load_dwordx4 v[152:155], v56, s[8:9] offset:32
	global_load_dwordx4 v[156:159], v57, s[8:9] offset:32
	global_load_dwordx4 v[162:165], v56, s[8:9] offset:48
	v_mul_lo_u16_sdwa v56, v172, s0 dst_sel:DWORD dst_unused:UNUSED_PAD src0_sel:BYTE_0 src1_sel:DWORD
	v_lshrrev_b16_e32 v160, 9, v56
	v_mul_lo_u16_e32 v56, 3, v160
	v_sub_u16_e32 v161, v172, v56
	v_mul_u32_u24_sdwa v56, v184, s1 dst_sel:DWORD dst_unused:UNUSED_PAD src0_sel:WORD_0 src1_sel:DWORD
	v_lshrrev_b32_e32 v215, 17, v56
	v_mul_lo_u16_e32 v56, 3, v215
	ds_read2_b64 v[116:119], v179 offset0:107 offset1:232
	v_sub_u16_e32 v216, v184, v56
	ds_read2_b64 v[120:123], v182 offset0:89 offset1:214
	global_load_dwordx4 v[166:169], v57, s[8:9] offset:48
	v_lshlrev_b32_sdwa v110, v208, v161 dst_sel:DWORD dst_unused:UNUSED_PAD src0_sel:DWORD src1_sel:BYTE_0
	global_load_dwordx4 v[218:221], v110, s[8:9] offset:16
	v_lshlrev_b32_e32 v111, 6, v216
	global_load_dwordx4 v[222:225], v111, s[8:9]
	global_load_dwordx4 v[234:237], v110, s[8:9] offset:48
	global_load_dwordx4 v[230:233], v111, s[8:9] offset:16
	;; [unrolled: 1-line block ×4, first 2 shown]
	v_mov_b32_e32 v207, 3
	s_mov_b32 s10, 0x134454ff
	s_mov_b32 s11, 0x3fee6f0e
	;; [unrolled: 1-line block ×12, first 2 shown]
	s_movk_i32 s20, 0x2000
	s_waitcnt vmcnt(21) lgkmcnt(1)
	v_mul_f64 v[46:47], v[116:117], v[44:45]
	v_mul_f64 v[44:45], v[70:71], v[44:45]
	v_fma_f64 v[46:47], v[70:71], v[42:43], -v[46:47]
	v_fmac_f64_e32 v[44:45], v[116:117], v[42:43]
	s_waitcnt vmcnt(20) lgkmcnt(0)
	v_mul_f64 v[42:43], v[120:121], v[22:23]
	v_mul_f64 v[68:69], v[64:65], v[22:23]
	v_fma_f64 v[62:63], v[64:65], v[20:21], -v[42:43]
	v_fmac_f64_e32 v[68:69], v[120:121], v[20:21]
	s_waitcnt vmcnt(19)
	v_mul_f64 v[20:21], v[118:119], v[84:85]
	v_mul_f64 v[56:57], v[72:73], v[84:85]
	v_fma_f64 v[64:65], v[72:73], v[82:83], -v[20:21]
	v_fmac_f64_e32 v[56:57], v[118:119], v[82:83]
	ds_read2_b64 v[82:85], v180 offset0:71 offset1:196
	s_waitcnt vmcnt(18)
	v_mul_f64 v[20:21], v[122:123], v[80:81]
	v_fma_f64 v[70:71], v[66:67], v[78:79], -v[20:21]
	v_mul_f64 v[66:67], v[66:67], v[80:81]
	v_fmac_f64_e32 v[66:67], v[122:123], v[78:79]
	s_waitcnt vmcnt(17) lgkmcnt(0)
	v_mul_f64 v[20:21], v[82:83], v[76:77]
	v_mul_f64 v[122:123], v[58:59], v[76:77]
	v_fma_f64 v[142:143], v[58:59], v[74:75], -v[20:21]
	global_load_dwordx4 v[20:23], v110, s[8:9]
	v_fmac_f64_e32 v[122:123], v[82:83], v[74:75]
	s_waitcnt vmcnt(17)
	v_mul_f64 v[42:43], v[84:85], v[26:27]
	v_mul_f64 v[82:83], v[60:61], v[26:27]
	v_fma_f64 v[128:129], v[60:61], v[24:25], -v[42:43]
	v_fmac_f64_e32 v[82:83], v[84:85], v[24:25]
	global_load_dwordx4 v[24:27], v111, s[8:9] offset:48
	ds_read2_b64 v[72:75], v181 offset0:53 offset1:178
	s_waitcnt vmcnt(17)
	v_mul_f64 v[148:149], v[52:53], v[34:35]
	s_waitcnt vmcnt(16)
	v_mul_f64 v[126:127], v[54:55], v[30:31]
	;; [unrolled: 2-line block ×4, first 2 shown]
	s_waitcnt lgkmcnt(0)
	v_mul_f64 v[42:43], v[72:73], v[34:35]
	v_fma_f64 v[150:151], v[52:53], v[32:33], -v[42:43]
	v_fmac_f64_e32 v[148:149], v[72:73], v[32:33]
	ds_read2_b64 v[32:35], v186 offset0:101 offset1:226
	v_mul_f64 v[42:43], v[74:75], v[30:31]
	v_fma_f64 v[144:145], v[54:55], v[28:29], -v[42:43]
	v_fmac_f64_e32 v[126:127], v[74:75], v[28:29]
	v_mul_f64 v[72:73], v[48:49], v[88:89]
	s_waitcnt lgkmcnt(0)
	v_mul_f64 v[28:29], v[32:33], v[88:89]
	v_fma_f64 v[118:119], v[48:49], v[86:87], -v[28:29]
	ds_read2_b64 v[28:31], v188 offset0:83 offset1:208
	v_fmac_f64_e32 v[72:73], v[32:33], v[86:87]
	v_mul_f64 v[32:33], v[34:35], v[92:93]
	v_fma_f64 v[58:59], v[50:51], v[90:91], -v[32:33]
	v_mul_f64 v[48:49], v[50:51], v[92:93]
	s_waitcnt lgkmcnt(0)
	v_mul_f64 v[32:33], v[28:29], v[114:115]
	v_fmac_f64_e32 v[48:49], v[34:35], v[90:91]
	v_fma_f64 v[136:137], v[38:39], v[112:113], -v[32:33]
	ds_read2_b64 v[32:35], v187 offset0:65 offset1:190
	v_fmac_f64_e32 v[110:111], v[28:29], v[112:113]
	v_mul_f64 v[28:29], v[30:31], v[140:141]
	v_fma_f64 v[76:77], v[40:41], v[138:139], -v[28:29]
	v_mul_f64 v[52:53], v[40:41], v[140:141]
	s_waitcnt lgkmcnt(0)
	v_mul_f64 v[28:29], v[32:33], v[154:155]
	v_fmac_f64_e32 v[52:53], v[30:31], v[138:139]
	v_fma_f64 v[140:141], v[16:17], v[152:153], -v[28:29]
	ds_read2_b64 v[28:31], v185 offset0:47 offset1:172
	s_waitcnt vmcnt(10)
	v_mul_f64 v[16:17], v[34:35], v[158:159]
	v_fma_f64 v[114:115], v[18:19], v[156:157], -v[16:17]
	v_mul_f64 v[54:55], v[18:19], v[158:159]
	s_waitcnt vmcnt(9)
	v_mul_f64 v[138:139], v[12:13], v[164:165]
	s_waitcnt lgkmcnt(0)
	v_mul_f64 v[16:17], v[28:29], v[164:165]
	v_fma_f64 v[146:147], v[12:13], v[162:163], -v[16:17]
	ds_read2_b64 v[16:19], v192 offset0:95 offset1:220
	s_waitcnt vmcnt(8)
	v_mul_f64 v[12:13], v[30:31], v[168:169]
	v_mul_f64 v[78:79], v[14:15], v[168:169]
	v_fmac_f64_e32 v[138:139], v[28:29], v[162:163]
	v_fma_f64 v[124:125], v[14:15], v[166:167], -v[12:13]
	v_fmac_f64_e32 v[78:79], v[30:31], v[166:167]
	s_waitcnt vmcnt(7) lgkmcnt(0)
	v_mul_f64 v[12:13], v[18:19], v[220:221]
	ds_read2_b64 v[28:31], v193 offset0:77 offset1:202
	s_waitcnt vmcnt(6)
	v_mul_f64 v[50:51], v[0:1], v[224:225]
	v_fmac_f64_e32 v[116:117], v[32:33], v[152:153]
	v_fma_f64 v[12:13], v[2:3], v[218:219], -v[12:13]
	v_mul_f64 v[152:153], v[2:3], v[220:221]
	v_mul_f64 v[2:3], v[16:17], v[224:225]
	v_fmac_f64_e32 v[50:51], v[16:17], v[222:223]
	ds_read2_b64 v[14:17], v191 offset0:59 offset1:184
	v_fma_f64 v[80:81], v[0:1], v[222:223], -v[2:3]
	s_waitcnt vmcnt(4) lgkmcnt(1)
	v_mul_f64 v[2:3], v[28:29], v[232:233]
	v_fma_f64 v[112:113], v[8:9], v[230:231], -v[2:3]
	v_fmac_f64_e32 v[54:55], v[34:35], v[156:157]
	s_waitcnt lgkmcnt(0)
	v_mul_f64 v[2:3], v[16:17], v[236:237]
	v_fma_f64 v[2:3], v[6:7], v[234:235], -v[2:3]
	v_mul_f64 v[156:157], v[6:7], v[236:237]
	s_waitcnt vmcnt(3)
	v_mul_f64 v[6:7], v[14:15], v[240:241]
	v_mul_f64 v[60:61], v[8:9], v[232:233]
	v_fma_f64 v[120:121], v[4:5], v[238:239], -v[6:7]
	ds_read_b64 v[6:7], v200
	ds_read_b64 v[158:159], v201
	ds_read_b64 v[8:9], v190 offset:29000
	s_waitcnt vmcnt(2)
	v_mul_f64 v[0:1], v[30:31], v[228:229]
	v_mul_f64 v[74:75], v[4:5], v[240:241]
	v_fma_f64 v[0:1], v[10:11], v[226:227], -v[0:1]
	v_mul_f64 v[154:155], v[10:11], v[228:229]
	v_fmac_f64_e32 v[156:157], v[16:17], v[234:235]
	v_add_f64 v[10:11], v[12:13], v[0:1]
	v_fmac_f64_e32 v[152:153], v[18:19], v[218:219]
	v_fmac_f64_e32 v[154:155], v[30:31], v[226:227]
	s_waitcnt vmcnt(1)
	v_mul_f64 v[170:171], v[108:109], v[22:23]
	s_waitcnt lgkmcnt(2)
	v_mul_f64 v[4:5], v[6:7], v[22:23]
	v_fmac_f64_e32 v[170:171], v[6:7], v[20:21]
	v_fma_f64 v[4:5], v[108:109], v[20:21], -v[4:5]
	v_fmac_f64_e32 v[74:75], v[14:15], v[238:239]
	v_fma_f64 v[10:11], -0.5, v[10:11], v[102:103]
	s_waitcnt vmcnt(0) lgkmcnt(0)
	v_mul_f64 v[6:7], v[8:9], v[26:27]
	v_fma_f64 v[166:167], v[106:107], v[24:25], -v[6:7]
	v_mul_f64 v[106:107], v[106:107], v[26:27]
	v_fmac_f64_e32 v[106:107], v[8:9], v[24:25]
	v_add_f64 v[6:7], v[4:5], -v[12:13]
	v_add_f64 v[8:9], v[2:3], -v[0:1]
	v_add_f64 v[6:7], v[6:7], v[8:9]
	v_mul_u32_u24_e32 v8, 0x78, v160
	v_lshlrev_b32_sdwa v9, v207, v161 dst_sel:DWORD dst_unused:UNUSED_PAD src0_sel:DWORD src1_sel:BYTE_0
	v_add3_u32 v217, 0, v8, v9
	v_add_f64 v[8:9], v[102:103], v[4:5]
	v_add_f64 v[14:15], v[170:171], -v[156:157]
	v_add_f64 v[8:9], v[8:9], v[12:13]
	v_fma_f64 v[16:17], s[10:11], v[14:15], v[10:11]
	v_add_f64 v[18:19], v[152:153], -v[154:155]
	v_add_f64 v[8:9], v[8:9], v[0:1]
	v_fmac_f64_e32 v[16:17], s[4:5], v[18:19]
	v_add_f64 v[8:9], v[8:9], v[2:3]
	v_fmac_f64_e32 v[16:17], s[12:13], v[6:7]
	ds_read_b64 v[168:169], v190
	ds_read_b64 v[164:165], v202
	ds_read_b64 v[162:163], v203
	ds_read_b64 v[160:161], v204
	ds_read_b64 v[108:109], v205
	s_waitcnt lgkmcnt(0)
	s_barrier
	ds_write2_b64 v217, v[8:9], v[16:17] offset1:3
	v_add_f64 v[8:9], v[4:5], v[2:3]
	v_fmac_f64_e32 v[102:103], -0.5, v[8:9]
	v_add_f64 v[8:9], v[12:13], -v[4:5]
	v_add_f64 v[16:17], v[0:1], -v[2:3]
	v_add_f64 v[8:9], v[8:9], v[16:17]
	v_fma_f64 v[16:17], s[14:15], v[18:19], v[102:103]
	v_fmac_f64_e32 v[102:103], s[10:11], v[18:19]
	v_fmac_f64_e32 v[10:11], s[14:15], v[14:15]
	;; [unrolled: 1-line block ×8, first 2 shown]
	v_add_f64 v[6:7], v[46:47], -v[62:63]
	v_add_f64 v[8:9], v[150:151], -v[142:143]
	v_add_f64 v[6:7], v[6:7], v[8:9]
	ds_write_b64 v217, v[10:11] offset:96
	v_mul_u32_u24_e32 v8, 0x78, v36
	v_lshlrev_b32_sdwa v9, v207, v37 dst_sel:DWORD dst_unused:UNUSED_PAD src0_sel:DWORD src1_sel:BYTE_0
	v_add_f64 v[10:11], v[62:63], v[142:143]
	ds_write2_b64 v217, v[16:17], v[102:103] offset0:6 offset1:9
	v_add3_u32 v102, 0, v8, v9
	v_add_f64 v[8:9], v[104:105], v[46:47]
	v_fma_f64 v[10:11], -0.5, v[10:11], v[104:105]
	v_add_f64 v[14:15], v[44:45], -v[148:149]
	v_add_f64 v[8:9], v[8:9], v[62:63]
	v_fma_f64 v[16:17], s[10:11], v[14:15], v[10:11]
	v_add_f64 v[18:19], v[68:69], -v[122:123]
	v_add_f64 v[8:9], v[8:9], v[142:143]
	v_fmac_f64_e32 v[16:17], s[4:5], v[18:19]
	v_add_f64 v[8:9], v[8:9], v[150:151]
	v_fmac_f64_e32 v[16:17], s[12:13], v[6:7]
	ds_write2_b64 v102, v[8:9], v[16:17] offset1:3
	v_add_f64 v[8:9], v[46:47], v[150:151]
	v_fmac_f64_e32 v[104:105], -0.5, v[8:9]
	v_add_f64 v[8:9], v[62:63], -v[46:47]
	v_add_f64 v[16:17], v[142:143], -v[150:151]
	v_add_f64 v[8:9], v[8:9], v[16:17]
	v_fma_f64 v[16:17], s[14:15], v[18:19], v[104:105]
	v_fmac_f64_e32 v[104:105], s[10:11], v[18:19]
	v_fmac_f64_e32 v[10:11], s[14:15], v[14:15]
	;; [unrolled: 1-line block ×8, first 2 shown]
	v_add_f64 v[6:7], v[64:65], -v[70:71]
	v_add_f64 v[8:9], v[144:145], -v[128:129]
	v_add_f64 v[6:7], v[6:7], v[8:9]
	ds_write_b64 v102, v[10:11] offset:96
	v_mul_u32_u24_e32 v8, 0x78, v209
	v_lshlrev_b32_e32 v9, 3, v210
	v_add_f64 v[10:11], v[70:71], v[128:129]
	v_add3_u32 v103, 0, v8, v9
	v_add_f64 v[8:9], v[100:101], v[64:65]
	v_fma_f64 v[10:11], -0.5, v[10:11], v[100:101]
	v_add_f64 v[14:15], v[56:57], -v[126:127]
	ds_write2_b64 v102, v[16:17], v[104:105] offset0:6 offset1:9
	v_add_f64 v[8:9], v[8:9], v[70:71]
	v_fma_f64 v[16:17], s[10:11], v[14:15], v[10:11]
	v_add_f64 v[18:19], v[66:67], -v[82:83]
	v_add_f64 v[8:9], v[8:9], v[128:129]
	v_fmac_f64_e32 v[16:17], s[4:5], v[18:19]
	v_add_f64 v[8:9], v[8:9], v[144:145]
	v_fmac_f64_e32 v[16:17], s[12:13], v[6:7]
	ds_write2_b64 v103, v[8:9], v[16:17] offset1:3
	v_add_f64 v[8:9], v[64:65], v[144:145]
	v_fmac_f64_e32 v[100:101], -0.5, v[8:9]
	v_add_f64 v[8:9], v[70:71], -v[64:65]
	v_add_f64 v[16:17], v[128:129], -v[144:145]
	v_add_f64 v[8:9], v[8:9], v[16:17]
	v_fma_f64 v[16:17], s[14:15], v[18:19], v[100:101]
	v_fmac_f64_e32 v[100:101], s[10:11], v[18:19]
	v_fmac_f64_e32 v[10:11], s[14:15], v[14:15]
	v_fmac_f64_e32 v[16:17], s[4:5], v[14:15]
	v_fmac_f64_e32 v[100:101], s[18:19], v[14:15]
	v_fmac_f64_e32 v[10:11], s[18:19], v[18:19]
	v_fmac_f64_e32 v[16:17], s[12:13], v[8:9]
	v_fmac_f64_e32 v[100:101], s[12:13], v[8:9]
	v_fmac_f64_e32 v[10:11], s[12:13], v[6:7]
	v_add_f64 v[6:7], v[118:119], -v[136:137]
	v_add_f64 v[8:9], v[146:147], -v[140:141]
	v_add_f64 v[6:7], v[6:7], v[8:9]
	v_perm_b32 v8, v214, v213, s0
	s_movk_i32 s0, 0x78
	v_pk_mul_lo_u16 v20, v8, s0 op_sel_hi:[1,0]
	ds_write_b64 v103, v[10:11] offset:96
	v_lshlrev_b32_e32 v8, 3, v212
	v_and_b32_e32 v9, 0xfff8, v20
	v_add_f64 v[10:11], v[136:137], v[140:141]
	v_add3_u32 v209, 0, v9, v8
	v_add_f64 v[8:9], v[98:99], v[118:119]
	v_fma_f64 v[10:11], -0.5, v[10:11], v[98:99]
	v_add_f64 v[14:15], v[72:73], -v[138:139]
	ds_write2_b64 v103, v[16:17], v[100:101] offset0:6 offset1:9
	v_add_f64 v[8:9], v[8:9], v[136:137]
	v_fma_f64 v[16:17], s[10:11], v[14:15], v[10:11]
	v_add_f64 v[18:19], v[110:111], -v[116:117]
	v_add_f64 v[8:9], v[8:9], v[140:141]
	v_fmac_f64_e32 v[16:17], s[4:5], v[18:19]
	v_add_f64 v[8:9], v[8:9], v[146:147]
	v_fmac_f64_e32 v[16:17], s[12:13], v[6:7]
	ds_write2_b64 v209, v[8:9], v[16:17] offset1:3
	v_add_f64 v[8:9], v[118:119], v[146:147]
	v_fmac_f64_e32 v[98:99], -0.5, v[8:9]
	v_add_f64 v[8:9], v[136:137], -v[118:119]
	v_add_f64 v[16:17], v[140:141], -v[146:147]
	v_add_f64 v[8:9], v[8:9], v[16:17]
	v_fma_f64 v[16:17], s[14:15], v[18:19], v[98:99]
	v_fmac_f64_e32 v[98:99], s[10:11], v[18:19]
	v_fmac_f64_e32 v[10:11], s[14:15], v[14:15]
	;; [unrolled: 1-line block ×8, first 2 shown]
	v_add_f64 v[6:7], v[58:59], -v[76:77]
	v_add_f64 v[8:9], v[124:125], -v[114:115]
	v_add_f64 v[6:7], v[6:7], v[8:9]
	v_lshrrev_b32_e32 v8, 16, v20
	v_lshlrev_b32_e32 v9, 3, v211
	v_add3_u32 v220, 0, v8, v9
	v_add_f64 v[8:9], v[76:77], v[114:115]
	ds_write_b64 v209, v[10:11] offset:96
	v_fma_f64 v[8:9], -0.5, v[8:9], v[96:97]
	v_add_f64 v[10:11], v[48:49], -v[78:79]
	v_add_f64 v[18:19], v[96:97], v[58:59]
	ds_write2_b64 v209, v[16:17], v[98:99] offset0:6 offset1:9
	v_fma_f64 v[14:15], s[10:11], v[10:11], v[8:9]
	v_add_f64 v[16:17], v[52:53], -v[54:55]
	v_add_f64 v[18:19], v[18:19], v[76:77]
	v_fmac_f64_e32 v[14:15], s[4:5], v[16:17]
	v_add_f64 v[18:19], v[18:19], v[114:115]
	v_fmac_f64_e32 v[14:15], s[12:13], v[6:7]
	v_add_f64 v[18:19], v[18:19], v[124:125]
	ds_write2_b64 v220, v[18:19], v[14:15] offset1:3
	v_add_f64 v[14:15], v[58:59], v[124:125]
	v_fmac_f64_e32 v[8:9], s[14:15], v[10:11]
	v_fmac_f64_e32 v[96:97], -0.5, v[14:15]
	v_add_f64 v[14:15], v[76:77], -v[58:59]
	v_add_f64 v[18:19], v[114:115], -v[124:125]
	v_fmac_f64_e32 v[8:9], s[18:19], v[16:17]
	v_add_f64 v[14:15], v[14:15], v[18:19]
	v_fma_f64 v[18:19], s[14:15], v[16:17], v[96:97]
	v_fmac_f64_e32 v[96:97], s[10:11], v[16:17]
	v_fmac_f64_e32 v[8:9], s[12:13], v[6:7]
	;; [unrolled: 1-line block ×4, first 2 shown]
	ds_write_b64 v220, v[8:9] offset:96
	v_mul_u32_u24_e32 v8, 0x78, v215
	v_lshlrev_b32_e32 v9, 3, v216
	v_add_f64 v[104:105], v[4:5], -v[2:3]
	v_add_f64 v[210:211], v[12:13], -v[0:1]
	v_add_f64 v[0:1], v[170:171], -v[152:153]
	v_add_f64 v[2:3], v[156:157], -v[154:155]
	v_fmac_f64_e32 v[60:61], v[28:29], v[230:231]
	v_fmac_f64_e32 v[18:19], s[12:13], v[14:15]
	;; [unrolled: 1-line block ×3, first 2 shown]
	v_add3_u32 v216, 0, v8, v9
	v_add_f64 v[8:9], v[112:113], v[120:121]
	v_add_f64 v[212:213], v[0:1], v[2:3]
	;; [unrolled: 1-line block ×3, first 2 shown]
	ds_write2_b64 v220, v[18:19], v[96:97] offset0:6 offset1:9
	v_add_f64 v[6:7], v[80:81], -v[112:113]
	v_add_f64 v[10:11], v[166:167], -v[120:121]
	v_fma_f64 v[8:9], -0.5, v[8:9], v[94:95]
	v_add_f64 v[16:17], v[60:61], -v[74:75]
	v_add_f64 v[18:19], v[94:95], v[80:81]
	v_fmac_f64_e32 v[94:95], -0.5, v[0:1]
	v_add_f64 v[0:1], v[112:113], -v[80:81]
	v_add_f64 v[2:3], v[120:121], -v[166:167]
	v_add_f64 v[6:7], v[6:7], v[10:11]
	v_add_f64 v[10:11], v[50:51], -v[106:107]
	v_add_f64 v[0:1], v[0:1], v[2:3]
	v_fma_f64 v[2:3], s[14:15], v[16:17], v[94:95]
	v_fmac_f64_e32 v[94:95], s[10:11], v[16:17]
	v_fmac_f64_e32 v[2:3], s[4:5], v[10:11]
	;; [unrolled: 1-line block ×5, first 2 shown]
	v_add_f64 v[0:1], v[168:169], v[170:171]
	v_add_f64 v[0:1], v[0:1], v[152:153]
	;; [unrolled: 1-line block ×5, first 2 shown]
	v_fma_f64 v[100:101], -0.5, v[0:1], v[168:169]
	v_fma_f64 v[14:15], s[10:11], v[10:11], v[8:9]
	v_add_f64 v[18:19], v[18:19], v[112:113]
	v_fmac_f64_e32 v[8:9], s[14:15], v[10:11]
	v_fma_f64 v[218:219], s[14:15], v[104:105], v[100:101]
	v_fmac_f64_e32 v[14:15], s[4:5], v[16:17]
	v_add_f64 v[18:19], v[18:19], v[120:121]
	v_fmac_f64_e32 v[8:9], s[18:19], v[16:17]
	v_fmac_f64_e32 v[218:219], s[18:19], v[210:211]
	v_fmac_f64_e32 v[14:15], s[12:13], v[6:7]
	v_add_f64 v[18:19], v[18:19], v[166:167]
	v_fmac_f64_e32 v[8:9], s[12:13], v[6:7]
	v_fmac_f64_e32 v[218:219], s[12:13], v[212:213]
	ds_write2_b64 v216, v[18:19], v[14:15] offset1:3
	ds_write2_b64 v216, v[2:3], v[94:95] offset0:6 offset1:9
	ds_write_b64 v216, v[8:9] offset:96
	s_waitcnt lgkmcnt(0)
	s_barrier
	ds_read_b64 v[94:95], v190
	ds_read_b64 v[90:91], v202
	;; [unrolled: 1-line block ×7, first 2 shown]
	ds_read_b64 v[96:97], v190 offset:29000
	ds_read2_b64 v[8:11], v192 offset0:95 offset1:220
	ds_read2_b64 v[4:7], v193 offset0:77 offset1:202
	;; [unrolled: 1-line block ×11, first 2 shown]
	s_waitcnt lgkmcnt(0)
	s_barrier
	ds_write2_b64 v217, v[214:215], v[218:219] offset1:3
	v_add_f64 v[214:215], v[170:171], v[156:157]
	v_fmac_f64_e32 v[168:169], -0.5, v[214:215]
	v_add_f64 v[152:153], v[152:153], -v[170:171]
	v_add_f64 v[154:155], v[154:155], -v[156:157]
	v_add_f64 v[152:153], v[152:153], v[154:155]
	v_fma_f64 v[154:155], s[10:11], v[210:211], v[168:169]
	v_fmac_f64_e32 v[168:169], s[14:15], v[210:211]
	v_fmac_f64_e32 v[154:155], s[18:19], v[104:105]
	;; [unrolled: 1-line block ×4, first 2 shown]
	v_add_f64 v[62:63], v[62:63], -v[142:143]
	v_add_f64 v[104:105], v[44:45], -v[68:69]
	;; [unrolled: 1-line block ×3, first 2 shown]
	v_add_f64 v[104:105], v[104:105], v[142:143]
	v_add_f64 v[142:143], v[68:69], v[122:123]
	v_add_f64 v[46:47], v[46:47], -v[150:151]
	v_fma_f64 v[142:143], -0.5, v[142:143], v[158:159]
	v_fma_f64 v[150:151], s[14:15], v[46:47], v[142:143]
	v_fmac_f64_e32 v[142:143], s[10:11], v[46:47]
	v_fmac_f64_e32 v[150:151], s[18:19], v[62:63]
	;; [unrolled: 1-line block ×5, first 2 shown]
	v_add_f64 v[104:105], v[158:159], v[44:45]
	v_fmac_f64_e32 v[154:155], s[12:13], v[152:153]
	v_fmac_f64_e32 v[168:169], s[12:13], v[152:153]
	v_add_f64 v[152:153], v[44:45], v[148:149]
	v_add_f64 v[104:105], v[104:105], v[68:69]
	v_fmac_f64_e32 v[158:159], -0.5, v[152:153]
	v_add_f64 v[44:45], v[68:69], -v[44:45]
	v_add_f64 v[68:69], v[104:105], v[122:123]
	v_add_f64 v[104:105], v[122:123], -v[148:149]
	v_add_f64 v[44:45], v[44:45], v[104:105]
	v_fma_f64 v[104:105], s[10:11], v[62:63], v[158:159]
	v_fmac_f64_e32 v[158:159], s[14:15], v[62:63]
	v_fmac_f64_e32 v[104:105], s[18:19], v[46:47]
	;; [unrolled: 1-line block ×5, first 2 shown]
	v_add_f64 v[44:45], v[64:65], -v[144:145]
	v_add_f64 v[62:63], v[56:57], -v[66:67]
	;; [unrolled: 1-line block ×3, first 2 shown]
	v_add_f64 v[62:63], v[62:63], v[64:65]
	v_add_f64 v[64:65], v[66:67], v[82:83]
	v_fma_f64 v[64:65], -0.5, v[64:65], v[164:165]
	v_add_f64 v[46:47], v[70:71], -v[128:129]
	v_fma_f64 v[70:71], s[14:15], v[44:45], v[64:65]
	v_fmac_f64_e32 v[64:65], s[10:11], v[44:45]
	v_fmac_f64_e32 v[70:71], s[18:19], v[46:47]
	;; [unrolled: 1-line block ×5, first 2 shown]
	v_add_f64 v[62:63], v[164:165], v[56:57]
	v_add_f64 v[122:123], v[56:57], v[126:127]
	v_fmac_f64_e32 v[164:165], -0.5, v[122:123]
	v_add_f64 v[62:63], v[62:63], v[66:67]
	v_add_f64 v[56:57], v[66:67], -v[56:57]
	v_add_f64 v[66:67], v[82:83], -v[126:127]
	v_add_f64 v[56:57], v[56:57], v[66:67]
	v_fma_f64 v[66:67], s[10:11], v[46:47], v[164:165]
	v_fmac_f64_e32 v[164:165], s[14:15], v[46:47]
	v_fmac_f64_e32 v[66:67], s[18:19], v[44:45]
	;; [unrolled: 1-line block ×3, first 2 shown]
	v_add_f64 v[62:63], v[62:63], v[82:83]
	v_fmac_f64_e32 v[66:67], s[12:13], v[56:57]
	v_fmac_f64_e32 v[164:165], s[12:13], v[56:57]
	v_add_f64 v[56:57], v[72:73], -v[110:111]
	v_add_f64 v[82:83], v[138:139], -v[116:117]
	v_add_f64 v[56:57], v[56:57], v[82:83]
	v_add_f64 v[82:83], v[110:111], v[116:117]
	v_add_f64 v[44:45], v[118:119], -v[146:147]
	v_fma_f64 v[82:83], -0.5, v[82:83], v[162:163]
	v_add_f64 v[46:47], v[136:137], -v[140:141]
	v_fma_f64 v[118:119], s[14:15], v[44:45], v[82:83]
	v_fmac_f64_e32 v[82:83], s[10:11], v[44:45]
	v_fmac_f64_e32 v[118:119], s[18:19], v[46:47]
	;; [unrolled: 1-line block ×5, first 2 shown]
	v_add_f64 v[56:57], v[162:163], v[72:73]
	v_add_f64 v[122:123], v[72:73], v[138:139]
	v_fmac_f64_e32 v[162:163], -0.5, v[122:123]
	v_add_f64 v[56:57], v[56:57], v[110:111]
	v_add_f64 v[72:73], v[110:111], -v[72:73]
	v_add_f64 v[110:111], v[116:117], -v[138:139]
	v_add_f64 v[72:73], v[72:73], v[110:111]
	v_fma_f64 v[110:111], s[10:11], v[46:47], v[162:163]
	v_fmac_f64_e32 v[162:163], s[14:15], v[46:47]
	v_fmac_f64_e32 v[110:111], s[18:19], v[44:45]
	;; [unrolled: 1-line block ×5, first 2 shown]
	v_add_f64 v[44:45], v[58:59], -v[124:125]
	v_add_f64 v[58:59], v[48:49], -v[52:53]
	;; [unrolled: 1-line block ×3, first 2 shown]
	v_add_f64 v[58:59], v[58:59], v[72:73]
	v_add_f64 v[72:73], v[52:53], v[54:55]
	v_fma_f64 v[72:73], -0.5, v[72:73], v[160:161]
	v_add_f64 v[46:47], v[76:77], -v[114:115]
	v_fma_f64 v[76:77], s[14:15], v[44:45], v[72:73]
	v_fmac_f64_e32 v[72:73], s[10:11], v[44:45]
	v_fmac_f64_e32 v[76:77], s[18:19], v[46:47]
	;; [unrolled: 1-line block ×5, first 2 shown]
	v_add_f64 v[58:59], v[160:161], v[48:49]
	v_add_f64 v[114:115], v[48:49], v[78:79]
	;; [unrolled: 1-line block ×3, first 2 shown]
	v_fmac_f64_e32 v[160:161], -0.5, v[114:115]
	v_add_f64 v[48:49], v[52:53], -v[48:49]
	v_add_f64 v[52:53], v[58:59], v[54:55]
	v_add_f64 v[54:55], v[54:55], -v[78:79]
	v_add_f64 v[48:49], v[48:49], v[54:55]
	v_fma_f64 v[54:55], s[10:11], v[46:47], v[160:161]
	v_fmac_f64_e32 v[160:161], s[14:15], v[46:47]
	v_fmac_f64_e32 v[54:55], s[18:19], v[44:45]
	v_fmac_f64_e32 v[160:161], s[4:5], v[44:45]
	v_fmac_f64_e32 v[54:55], s[12:13], v[48:49]
	v_fmac_f64_e32 v[160:161], s[12:13], v[48:49]
	v_add_f64 v[48:49], v[50:51], -v[60:61]
	v_add_f64 v[58:59], v[106:107], -v[74:75]
	v_add_f64 v[48:49], v[48:49], v[58:59]
	v_add_f64 v[58:59], v[60:61], v[74:75]
	v_add_f64 v[44:45], v[80:81], -v[166:167]
	v_fma_f64 v[58:59], -0.5, v[58:59], v[108:109]
	v_add_f64 v[52:53], v[52:53], v[78:79]
	v_add_f64 v[46:47], v[112:113], -v[120:121]
	v_fma_f64 v[78:79], s[14:15], v[44:45], v[58:59]
	v_fmac_f64_e32 v[58:59], s[10:11], v[44:45]
	v_fmac_f64_e32 v[78:79], s[18:19], v[46:47]
	;; [unrolled: 1-line block ×5, first 2 shown]
	v_add_f64 v[48:49], v[108:109], v[50:51]
	v_add_f64 v[80:81], v[50:51], v[106:107]
	v_fmac_f64_e32 v[108:109], -0.5, v[80:81]
	v_add_f64 v[48:49], v[48:49], v[60:61]
	v_add_f64 v[50:51], v[60:61], -v[50:51]
	v_add_f64 v[60:61], v[74:75], -v[106:107]
	v_add_f64 v[50:51], v[50:51], v[60:61]
	v_fma_f64 v[60:61], s[10:11], v[46:47], v[108:109]
	v_fmac_f64_e32 v[108:109], s[14:15], v[46:47]
	s_movk_i32 s0, 0x89
	v_fmac_f64_e32 v[60:61], s[18:19], v[44:45]
	v_fmac_f64_e32 v[108:109], s[4:5], v[44:45]
	v_mul_lo_u16_sdwa v44, v173, s0 dst_sel:DWORD dst_unused:UNUSED_PAD src0_sel:BYTE_0 src1_sel:DWORD
	v_lshrrev_b16_e32 v140, 11, v44
	v_mul_lo_u16_e32 v44, 15, v140
	v_fmac_f64_e32 v[100:101], s[4:5], v[210:211]
	v_sub_u16_e32 v141, v173, v44
	v_fmac_f64_e32 v[100:101], s[12:13], v[212:213]
	v_add_f64 v[56:57], v[56:57], v[116:117]
	v_add_f64 v[48:49], v[48:49], v[74:75]
	v_lshlrev_b32_sdwa v44, v208, v141 dst_sel:DWORD dst_unused:UNUSED_PAD src0_sel:DWORD src1_sel:BYTE_0
	ds_write2_b64 v217, v[154:155], v[168:169] offset0:6 offset1:9
	v_add_f64 v[68:69], v[68:69], v[148:149]
	v_add_f64 v[62:63], v[62:63], v[126:127]
	;; [unrolled: 1-line block ×4, first 2 shown]
	v_fmac_f64_e32 v[60:61], s[12:13], v[50:51]
	v_fmac_f64_e32 v[108:109], s[12:13], v[50:51]
	ds_write_b64 v217, v[100:101] offset:96
	ds_write2_b64 v102, v[68:69], v[150:151] offset1:3
	ds_write2_b64 v102, v[104:105], v[158:159] offset0:6 offset1:9
	ds_write_b64 v102, v[142:143] offset:96
	ds_write2_b64 v103, v[62:63], v[70:71] offset1:3
	ds_write2_b64 v103, v[66:67], v[164:165] offset0:6 offset1:9
	;; [unrolled: 3-line block ×5, first 2 shown]
	ds_write_b64 v216, v[58:59] offset:96
	s_waitcnt lgkmcnt(0)
	s_barrier
	global_load_dwordx4 v[76:79], v44, s[8:9] offset:192
	v_mul_u32_u24_sdwa v45, v174, s1 dst_sel:DWORD dst_unused:UNUSED_PAD src0_sel:WORD_0 src1_sel:DWORD
	v_lshrrev_b32_e32 v170, 19, v45
	v_mul_lo_u16_e32 v45, 15, v170
	v_sub_u16_e32 v171, v174, v45
	v_lshlrev_b32_e32 v45, 6, v171
	global_load_dwordx4 v[68:71], v45, s[8:9] offset:192
	global_load_dwordx4 v[64:67], v44, s[8:9] offset:208
	;; [unrolled: 1-line block ×6, first 2 shown]
	s_nop 0
	global_load_dwordx4 v[44:47], v45, s[8:9] offset:240
	v_mul_u32_u24_sdwa v72, v132, s1 dst_sel:DWORD dst_unused:UNUSED_PAD src0_sel:WORD_0 src1_sel:DWORD
	v_lshrrev_b32_e32 v211, 19, v72
	v_mul_lo_u16_e32 v72, 15, v211
	v_sub_u16_e32 v212, v132, v72
	v_lshlrev_b32_e32 v110, 6, v212
	global_load_dwordx4 v[72:75], v110, s[8:9] offset:192
	v_mul_u32_u24_sdwa v80, v133, s1 dst_sel:DWORD dst_unused:UNUSED_PAD src0_sel:WORD_0 src1_sel:DWORD
	v_lshrrev_b32_e32 v209, 19, v80
	v_mul_lo_u16_e32 v80, 15, v209
	v_sub_u16_e32 v210, v133, v80
	v_lshlrev_b32_e32 v111, 6, v210
	global_load_dwordx4 v[80:83], v111, s[8:9] offset:192
	global_load_dwordx4 v[106:109], v110, s[8:9] offset:208
	;; [unrolled: 1-line block ×4, first 2 shown]
	ds_read2_b64 v[102:105], v179 offset0:107 offset1:232
	global_load_dwordx4 v[156:159], v111, s[8:9] offset:224
	global_load_dwordx4 v[160:163], v110, s[8:9] offset:240
	;; [unrolled: 1-line block ×3, first 2 shown]
	ds_read2_b64 v[116:119], v182 offset0:89 offset1:214
	ds_read2_b64 v[122:125], v180 offset0:71 offset1:196
	v_add_u32_e32 v213, 0xc00, v190
	s_waitcnt vmcnt(15) lgkmcnt(2)
	v_mul_f64 v[100:101], v[102:103], v[78:79]
	v_fma_f64 v[100:101], v[40:41], v[76:77], -v[100:101]
	v_mul_f64 v[78:79], v[40:41], v[78:79]
	v_mul_lo_u16_sdwa v40, v172, s0 dst_sel:DWORD dst_unused:UNUSED_PAD src0_sel:BYTE_0 src1_sel:DWORD
	v_lshrrev_b16_e32 v154, 11, v40
	v_mul_lo_u16_e32 v40, 15, v154
	v_sub_u16_e32 v155, v172, v40
	v_mul_u32_u24_sdwa v40, v184, s1 dst_sel:DWORD dst_unused:UNUSED_PAD src0_sel:WORD_0 src1_sel:DWORD
	v_lshrrev_b32_e32 v40, 19, v40
	v_fmac_f64_e32 v[78:79], v[102:103], v[76:77]
	v_lshlrev_b32_sdwa v102, v208, v155 dst_sel:DWORD dst_unused:UNUSED_PAD src0_sel:DWORD src1_sel:BYTE_0
	v_mul_lo_u16_e32 v41, 15, v40
	global_load_dwordx4 v[214:217], v102, s[8:9] offset:208
	v_sub_u16_e32 v41, v184, v41
	v_lshlrev_b32_e32 v110, 6, v41
	global_load_dwordx4 v[218:221], v110, s[8:9] offset:192
	global_load_dwordx4 v[226:229], v110, s[8:9] offset:208
	global_load_dwordx4 v[222:225], v102, s[8:9] offset:224
	global_load_dwordx4 v[230:233], v102, s[8:9] offset:240
	global_load_dwordx4 v[234:237], v110, s[8:9] offset:224
	s_waitcnt vmcnt(20)
	v_mul_f64 v[76:77], v[104:105], v[70:71]
	v_fma_f64 v[76:77], v[42:43], v[68:69], -v[76:77]
	v_mul_f64 v[70:71], v[42:43], v[70:71]
	s_waitcnt vmcnt(19) lgkmcnt(1)
	v_mul_f64 v[42:43], v[116:117], v[66:67]
	v_fmac_f64_e32 v[70:71], v[104:105], v[68:69]
	v_fma_f64 v[142:143], v[36:37], v[64:65], -v[42:43]
	v_mul_f64 v[104:105], v[36:37], v[66:67]
	s_waitcnt vmcnt(18)
	v_mul_f64 v[36:37], v[118:119], v[62:63]
	v_fmac_f64_e32 v[104:105], v[116:117], v[64:65]
	v_fma_f64 v[64:65], v[38:39], v[60:61], -v[36:37]
	s_waitcnt vmcnt(17) lgkmcnt(0)
	v_mul_f64 v[36:37], v[122:123], v[58:59]
	v_mul_f64 v[62:63], v[38:39], v[62:63]
	v_fma_f64 v[144:145], v[32:33], v[56:57], -v[36:37]
	v_mul_f64 v[120:121], v[32:33], v[58:59]
	s_waitcnt vmcnt(16)
	v_mul_f64 v[32:33], v[124:125], v[54:55]
	global_load_dwordx4 v[36:39], v102, s[8:9] offset:192
	v_fmac_f64_e32 v[62:63], v[118:119], v[60:61]
	v_fma_f64 v[118:119], v[34:35], v[52:53], -v[32:33]
	v_mul_f64 v[102:103], v[34:35], v[54:55]
	global_load_dwordx4 v[32:35], v110, s[8:9] offset:240
	v_fmac_f64_e32 v[120:121], v[122:123], v[56:57]
	ds_read2_b64 v[56:59], v181 offset0:53 offset1:178
	s_waitcnt vmcnt(17)
	v_mul_f64 v[138:139], v[28:29], v[50:51]
	s_waitcnt vmcnt(16)
	v_mul_f64 v[116:117], v[30:31], v[46:47]
	;; [unrolled: 2-line block ×3, first 2 shown]
	v_fmac_f64_e32 v[102:103], v[124:125], v[52:53]
	s_waitcnt lgkmcnt(0)
	v_mul_f64 v[42:43], v[56:57], v[50:51]
	v_fma_f64 v[146:147], v[28:29], v[48:49], -v[42:43]
	v_fmac_f64_e32 v[138:139], v[56:57], v[48:49]
	ds_read2_b64 v[48:51], v186 offset0:101 offset1:226
	v_mul_f64 v[28:29], v[58:59], v[46:47]
	v_fma_f64 v[128:129], v[30:31], v[44:45], -v[28:29]
	s_waitcnt vmcnt(12)
	v_mul_f64 v[52:53], v[22:23], v[114:115]
	s_waitcnt vmcnt(10)
	v_mul_f64 v[54:55], v[18:19], v[158:159]
	s_waitcnt lgkmcnt(0)
	v_mul_f64 v[28:29], v[48:49], v[74:75]
	v_fma_f64 v[110:111], v[24:25], v[72:73], -v[28:29]
	ds_read2_b64 v[28:31], v188 offset0:83 offset1:208
	v_mul_f64 v[24:25], v[50:51], v[82:83]
	v_fma_f64 v[56:57], v[26:27], v[80:81], -v[24:25]
	v_mul_f64 v[24:25], v[26:27], v[82:83]
	v_fmac_f64_e32 v[24:25], v[50:51], v[80:81]
	s_waitcnt lgkmcnt(0)
	v_mul_f64 v[26:27], v[28:29], v[108:109]
	v_mul_f64 v[80:81], v[20:21], v[108:109]
	v_fma_f64 v[122:123], v[20:21], v[106:107], -v[26:27]
	v_fmac_f64_e32 v[80:81], v[28:29], v[106:107]
	ds_read2_b64 v[26:29], v187 offset0:65 offset1:190
	v_mul_f64 v[20:21], v[30:31], v[114:115]
	v_fma_f64 v[68:69], v[22:23], v[112:113], -v[20:21]
	v_mul_f64 v[108:109], v[16:17], v[150:151]
	s_waitcnt vmcnt(9)
	v_mul_f64 v[124:125], v[12:13], v[162:163]
	s_waitcnt lgkmcnt(0)
	v_mul_f64 v[20:21], v[26:27], v[150:151]
	v_fma_f64 v[126:127], v[16:17], v[148:149], -v[20:21]
	ds_read2_b64 v[20:23], v185 offset0:47 offset1:172
	v_mul_f64 v[16:17], v[28:29], v[158:159]
	v_fma_f64 v[106:107], v[18:19], v[156:157], -v[16:17]
	v_fmac_f64_e32 v[108:109], v[26:27], v[148:149]
	v_fmac_f64_e32 v[60:61], v[48:49], v[72:73]
	s_waitcnt lgkmcnt(0)
	v_mul_f64 v[16:17], v[20:21], v[162:163]
	v_fma_f64 v[136:137], v[12:13], v[160:161], -v[16:17]
	ds_read2_b64 v[16:19], v192 offset0:95 offset1:220
	s_waitcnt vmcnt(8)
	v_mul_f64 v[12:13], v[22:23], v[166:167]
	v_fmac_f64_e32 v[124:125], v[20:21], v[160:161]
	v_fma_f64 v[114:115], v[14:15], v[164:165], -v[12:13]
	v_mul_f64 v[72:73], v[14:15], v[166:167]
	v_fmac_f64_e32 v[116:117], v[58:59], v[44:45]
	v_fmac_f64_e32 v[52:53], v[30:31], v[112:113]
	;; [unrolled: 1-line block ×4, first 2 shown]
	v_add_u32_e32 v208, 0x4c00, v190
	s_movk_i32 s0, 0x4b
	v_cmp_gt_u32_e64 s[0:1], s0, v172
	s_waitcnt vmcnt(7)
	v_mul_f64 v[148:149], v[10:11], v[216:217]
	s_waitcnt lgkmcnt(0)
	v_mul_f64 v[12:13], v[18:19], v[216:217]
	v_fmac_f64_e32 v[148:149], v[18:19], v[214:215]
	ds_read2_b64 v[18:21], v193 offset0:77 offset1:202
	s_waitcnt vmcnt(6)
	v_mul_f64 v[26:27], v[8:9], v[220:221]
	v_fma_f64 v[12:13], v[10:11], v[214:215], -v[12:13]
	v_mul_f64 v[10:11], v[16:17], v[220:221]
	v_fmac_f64_e32 v[26:27], v[16:17], v[218:219]
	ds_read2_b64 v[14:17], v191 offset0:59 offset1:184
	v_fma_f64 v[74:75], v[8:9], v[218:219], -v[10:11]
	s_waitcnt vmcnt(4) lgkmcnt(1)
	v_mul_f64 v[8:9], v[20:21], v[224:225]
	v_fma_f64 v[8:9], v[6:7], v[222:223], -v[8:9]
	v_mul_f64 v[150:151], v[6:7], v[224:225]
	v_mul_f64 v[6:7], v[18:19], v[228:229]
	v_fma_f64 v[82:83], v[4:5], v[226:227], -v[6:7]
	v_mul_f64 v[58:59], v[4:5], v[228:229]
	s_waitcnt vmcnt(3) lgkmcnt(0)
	v_mul_f64 v[4:5], v[16:17], v[232:233]
	v_fma_f64 v[4:5], v[2:3], v[230:231], -v[4:5]
	v_mul_f64 v[152:153], v[2:3], v[232:233]
	s_waitcnt vmcnt(2)
	v_mul_f64 v[2:3], v[14:15], v[236:237]
	v_fma_f64 v[112:113], v[0:1], v[234:235], -v[2:3]
	ds_read_b64 v[2:3], v200
	v_mul_f64 v[66:67], v[0:1], v[236:237]
	ds_read_b64 v[164:165], v201
	ds_read_b64 v[0:1], v190 offset:29000
	s_waitcnt vmcnt(1)
	v_mul_f64 v[168:169], v[98:99], v[38:39]
	v_fmac_f64_e32 v[152:153], v[16:17], v[230:231]
	s_waitcnt lgkmcnt(2)
	v_mul_f64 v[6:7], v[2:3], v[38:39]
	v_fma_f64 v[6:7], v[98:99], v[36:37], -v[6:7]
	v_fmac_f64_e32 v[168:169], v[2:3], v[36:37]
	s_waitcnt vmcnt(0) lgkmcnt(0)
	v_mul_f64 v[2:3], v[0:1], v[34:35]
	v_mul_f64 v[98:99], v[96:97], v[34:35]
	v_fma_f64 v[162:163], v[96:97], v[32:33], -v[2:3]
	v_fmac_f64_e32 v[98:99], v[0:1], v[32:33]
	v_add_f64 v[0:1], v[6:7], -v[12:13]
	v_add_f64 v[2:3], v[4:5], -v[8:9]
	v_add_f64 v[0:1], v[0:1], v[2:3]
	v_mul_u32_u24_e32 v2, 0x258, v154
	v_lshlrev_b32_sdwa v3, v207, v155 dst_sel:DWORD dst_unused:UNUSED_PAD src0_sel:DWORD src1_sel:BYTE_0
	v_add_f64 v[10:11], v[12:13], v[8:9]
	v_fmac_f64_e32 v[150:151], v[20:21], v[222:223]
	v_fmac_f64_e32 v[66:67], v[14:15], v[234:235]
	v_add3_u32 v219, 0, v2, v3
	v_add_f64 v[2:3], v[94:95], v[6:7]
	v_fma_f64 v[10:11], -0.5, v[10:11], v[94:95]
	v_add_f64 v[14:15], v[168:169], -v[152:153]
	v_fmac_f64_e32 v[58:59], v[18:19], v[226:227]
	v_add_f64 v[2:3], v[2:3], v[12:13]
	v_fma_f64 v[16:17], s[10:11], v[14:15], v[10:11]
	v_add_f64 v[18:19], v[148:149], -v[150:151]
	v_add_f64 v[2:3], v[2:3], v[8:9]
	v_fmac_f64_e32 v[16:17], s[4:5], v[18:19]
	v_add_f64 v[2:3], v[2:3], v[4:5]
	v_fmac_f64_e32 v[16:17], s[12:13], v[0:1]
	ds_read_b64 v[166:167], v190
	ds_read_b64 v[160:161], v202
	;; [unrolled: 1-line block ×5, first 2 shown]
	s_waitcnt lgkmcnt(0)
	s_barrier
	ds_write2_b64 v219, v[2:3], v[16:17] offset1:15
	v_add_f64 v[2:3], v[6:7], v[4:5]
	v_fmac_f64_e32 v[94:95], -0.5, v[2:3]
	v_add_f64 v[2:3], v[12:13], -v[6:7]
	v_add_f64 v[16:17], v[8:9], -v[4:5]
	v_add_f64 v[2:3], v[2:3], v[16:17]
	v_fma_f64 v[16:17], s[14:15], v[18:19], v[94:95]
	v_fmac_f64_e32 v[94:95], s[10:11], v[18:19]
	v_fmac_f64_e32 v[10:11], s[14:15], v[14:15]
	;; [unrolled: 1-line block ×8, first 2 shown]
	v_add_f64 v[0:1], v[100:101], -v[142:143]
	v_add_f64 v[2:3], v[146:147], -v[144:145]
	v_add_f64 v[0:1], v[0:1], v[2:3]
	ds_write_b64 v219, v[10:11] offset:480
	v_mul_u32_u24_e32 v2, 0x258, v140
	v_lshlrev_b32_sdwa v3, v207, v141 dst_sel:DWORD dst_unused:UNUSED_PAD src0_sel:DWORD src1_sel:BYTE_0
	v_add_f64 v[10:11], v[142:143], v[144:145]
	v_add3_u32 v217, 0, v2, v3
	v_add_f64 v[2:3], v[92:93], v[100:101]
	v_fma_f64 v[10:11], -0.5, v[10:11], v[92:93]
	v_add_f64 v[14:15], v[78:79], -v[138:139]
	ds_write2_b64 v219, v[16:17], v[94:95] offset0:30 offset1:45
	v_add_f64 v[2:3], v[2:3], v[142:143]
	v_fma_f64 v[16:17], s[10:11], v[14:15], v[10:11]
	v_add_f64 v[18:19], v[104:105], -v[120:121]
	v_add_f64 v[2:3], v[2:3], v[144:145]
	v_fmac_f64_e32 v[16:17], s[4:5], v[18:19]
	v_add_f64 v[2:3], v[2:3], v[146:147]
	v_fmac_f64_e32 v[16:17], s[12:13], v[0:1]
	ds_write2_b64 v217, v[2:3], v[16:17] offset1:15
	v_add_f64 v[2:3], v[100:101], v[146:147]
	v_fmac_f64_e32 v[92:93], -0.5, v[2:3]
	v_add_f64 v[2:3], v[142:143], -v[100:101]
	v_add_f64 v[16:17], v[144:145], -v[146:147]
	v_add_f64 v[2:3], v[2:3], v[16:17]
	v_fma_f64 v[16:17], s[14:15], v[18:19], v[92:93]
	v_fmac_f64_e32 v[92:93], s[10:11], v[18:19]
	v_fmac_f64_e32 v[10:11], s[14:15], v[14:15]
	;; [unrolled: 1-line block ×8, first 2 shown]
	v_add_f64 v[0:1], v[76:77], -v[64:65]
	v_add_f64 v[2:3], v[128:129], -v[118:119]
	v_add_f64 v[0:1], v[0:1], v[2:3]
	ds_write_b64 v217, v[10:11] offset:480
	v_mul_u32_u24_e32 v2, 0x258, v170
	v_lshlrev_b32_e32 v3, 3, v171
	v_add_f64 v[10:11], v[64:65], v[118:119]
	v_add3_u32 v218, 0, v2, v3
	v_add_f64 v[2:3], v[90:91], v[76:77]
	v_fma_f64 v[10:11], -0.5, v[10:11], v[90:91]
	v_add_f64 v[14:15], v[70:71], -v[116:117]
	ds_write2_b64 v217, v[16:17], v[92:93] offset0:30 offset1:45
	v_add_f64 v[2:3], v[2:3], v[64:65]
	v_fma_f64 v[16:17], s[10:11], v[14:15], v[10:11]
	v_add_f64 v[18:19], v[62:63], -v[102:103]
	v_add_f64 v[2:3], v[2:3], v[118:119]
	v_fmac_f64_e32 v[16:17], s[4:5], v[18:19]
	v_add_f64 v[2:3], v[2:3], v[128:129]
	v_fmac_f64_e32 v[16:17], s[12:13], v[0:1]
	ds_write2_b64 v218, v[2:3], v[16:17] offset1:15
	v_add_f64 v[2:3], v[76:77], v[128:129]
	v_fmac_f64_e32 v[90:91], -0.5, v[2:3]
	v_add_f64 v[2:3], v[64:65], -v[76:77]
	v_add_f64 v[16:17], v[118:119], -v[128:129]
	v_add_f64 v[2:3], v[2:3], v[16:17]
	v_fma_f64 v[16:17], s[14:15], v[18:19], v[90:91]
	v_fmac_f64_e32 v[90:91], s[10:11], v[18:19]
	v_fmac_f64_e32 v[10:11], s[14:15], v[14:15]
	;; [unrolled: 1-line block ×8, first 2 shown]
	v_add_f64 v[0:1], v[110:111], -v[122:123]
	v_add_f64 v[2:3], v[136:137], -v[126:127]
	v_add_f64 v[0:1], v[0:1], v[2:3]
	ds_write_b64 v218, v[10:11] offset:480
	v_mul_u32_u24_e32 v2, 0x258, v211
	v_lshlrev_b32_e32 v3, 3, v212
	v_add_f64 v[10:11], v[122:123], v[126:127]
	v_add3_u32 v228, 0, v2, v3
	v_add_f64 v[2:3], v[88:89], v[110:111]
	v_fma_f64 v[10:11], -0.5, v[10:11], v[88:89]
	v_add_f64 v[14:15], v[60:61], -v[124:125]
	ds_write2_b64 v218, v[16:17], v[90:91] offset0:30 offset1:45
	v_add_f64 v[2:3], v[2:3], v[122:123]
	v_fma_f64 v[16:17], s[10:11], v[14:15], v[10:11]
	v_add_f64 v[18:19], v[80:81], -v[108:109]
	v_add_f64 v[2:3], v[2:3], v[126:127]
	v_fmac_f64_e32 v[16:17], s[4:5], v[18:19]
	v_add_f64 v[2:3], v[2:3], v[136:137]
	v_fmac_f64_e32 v[16:17], s[12:13], v[0:1]
	ds_write2_b64 v228, v[2:3], v[16:17] offset1:15
	v_add_f64 v[2:3], v[110:111], v[136:137]
	v_fmac_f64_e32 v[88:89], -0.5, v[2:3]
	v_add_f64 v[2:3], v[122:123], -v[110:111]
	v_add_f64 v[16:17], v[126:127], -v[136:137]
	v_add_f64 v[2:3], v[2:3], v[16:17]
	v_fma_f64 v[16:17], s[14:15], v[18:19], v[88:89]
	v_fmac_f64_e32 v[88:89], s[10:11], v[18:19]
	v_fmac_f64_e32 v[10:11], s[14:15], v[14:15]
	;; [unrolled: 1-line block ×8, first 2 shown]
	v_add_f64 v[0:1], v[56:57], -v[68:69]
	v_add_f64 v[2:3], v[114:115], -v[106:107]
	v_add_f64 v[0:1], v[0:1], v[2:3]
	v_mul_u32_u24_e32 v2, 0x258, v209
	v_lshlrev_b32_e32 v3, 3, v210
	v_add3_u32 v229, 0, v2, v3
	v_add_f64 v[2:3], v[68:69], v[106:107]
	ds_write_b64 v228, v[10:11] offset:480
	v_fma_f64 v[2:3], -0.5, v[2:3], v[86:87]
	v_add_f64 v[10:11], v[24:25], -v[72:73]
	v_add_f64 v[18:19], v[86:87], v[56:57]
	ds_write2_b64 v228, v[16:17], v[88:89] offset0:30 offset1:45
	v_fma_f64 v[14:15], s[10:11], v[10:11], v[2:3]
	v_add_f64 v[16:17], v[52:53], -v[54:55]
	v_add_f64 v[18:19], v[18:19], v[68:69]
	v_fmac_f64_e32 v[14:15], s[4:5], v[16:17]
	v_add_f64 v[18:19], v[18:19], v[106:107]
	v_fmac_f64_e32 v[14:15], s[12:13], v[0:1]
	;; [unrolled: 2-line block ×3, first 2 shown]
	ds_write2_b64 v229, v[18:19], v[14:15] offset1:15
	v_add_f64 v[14:15], v[56:57], v[114:115]
	v_fmac_f64_e32 v[2:3], s[18:19], v[16:17]
	v_fmac_f64_e32 v[86:87], -0.5, v[14:15]
	v_add_f64 v[14:15], v[68:69], -v[56:57]
	v_add_f64 v[18:19], v[106:107], -v[114:115]
	v_fmac_f64_e32 v[2:3], s[12:13], v[0:1]
	v_add_f64 v[14:15], v[14:15], v[18:19]
	v_fma_f64 v[18:19], s[14:15], v[16:17], v[86:87]
	v_fmac_f64_e32 v[86:87], s[10:11], v[16:17]
	ds_write_b64 v229, v[2:3] offset:480
	v_mul_u32_u24_e32 v2, 0x258, v40
	v_lshlrev_b32_e32 v3, 3, v41
	v_fmac_f64_e32 v[18:19], s[4:5], v[10:11]
	v_fmac_f64_e32 v[86:87], s[18:19], v[10:11]
	v_add_f64 v[0:1], v[74:75], -v[82:83]
	v_add_f64 v[10:11], v[162:163], -v[112:113]
	v_add3_u32 v230, 0, v2, v3
	v_add_f64 v[2:3], v[82:83], v[112:113]
	v_add_f64 v[0:1], v[0:1], v[10:11]
	v_fma_f64 v[2:3], -0.5, v[2:3], v[84:85]
	v_add_f64 v[10:11], v[26:27], -v[98:99]
	v_fmac_f64_e32 v[18:19], s[12:13], v[14:15]
	v_fmac_f64_e32 v[86:87], s[12:13], v[14:15]
	v_fma_f64 v[14:15], s[10:11], v[10:11], v[2:3]
	v_add_f64 v[16:17], v[58:59], -v[66:67]
	v_fmac_f64_e32 v[2:3], s[14:15], v[10:11]
	v_fmac_f64_e32 v[14:15], s[4:5], v[16:17]
	;; [unrolled: 1-line block ×3, first 2 shown]
	ds_write2_b64 v229, v[18:19], v[86:87] offset0:30 offset1:45
	v_fmac_f64_e32 v[14:15], s[12:13], v[0:1]
	v_add_f64 v[86:87], v[6:7], -v[4:5]
	v_add_f64 v[4:5], v[168:169], -v[148:149]
	;; [unrolled: 1-line block ×3, first 2 shown]
	v_fmac_f64_e32 v[2:3], s[12:13], v[0:1]
	v_add_f64 v[0:1], v[74:75], v[162:163]
	v_add_f64 v[18:19], v[84:85], v[74:75]
	v_add_f64 v[222:223], v[4:5], v[6:7]
	v_fmac_f64_e32 v[84:85], -0.5, v[0:1]
	v_add_f64 v[0:1], v[82:83], -v[74:75]
	v_add_f64 v[4:5], v[112:113], -v[162:163]
	v_add_f64 v[0:1], v[0:1], v[4:5]
	v_fma_f64 v[4:5], s[14:15], v[16:17], v[84:85]
	v_fmac_f64_e32 v[84:85], s[10:11], v[16:17]
	v_fmac_f64_e32 v[4:5], s[4:5], v[10:11]
	;; [unrolled: 1-line block ×5, first 2 shown]
	v_add_f64 v[0:1], v[166:167], v[168:169]
	v_add_f64 v[0:1], v[0:1], v[148:149]
	;; [unrolled: 1-line block ×3, first 2 shown]
	ds_write2_b64 v230, v[4:5], v[84:85] offset0:30 offset1:45
	v_add_f64 v[84:85], v[0:1], v[152:153]
	v_add_f64 v[0:1], v[148:149], v[150:151]
	v_fma_f64 v[224:225], -0.5, v[0:1], v[166:167]
	v_add_f64 v[18:19], v[18:19], v[82:83]
	v_add_f64 v[220:221], v[12:13], -v[8:9]
	v_fma_f64 v[226:227], s[14:15], v[86:87], v[224:225]
	v_add_f64 v[18:19], v[18:19], v[112:113]
	v_fmac_f64_e32 v[226:227], s[18:19], v[220:221]
	v_add_f64 v[18:19], v[18:19], v[162:163]
	v_fmac_f64_e32 v[226:227], s[12:13], v[222:223]
	ds_write2_b64 v230, v[18:19], v[14:15] offset1:15
	ds_write_b64 v230, v[2:3] offset:480
	s_waitcnt lgkmcnt(0)
	s_barrier
	v_lshl_add_u32 v170, v206, 3, 0
	v_add_u32_e32 v216, 0x2c00, v190
	v_add_u32_e32 v210, 0x3400, v190
	;; [unrolled: 1-line block ×9, first 2 shown]
	ds_read_b64 v[140:141], v203
	ds_read_b64 v[94:95], v170
	;; [unrolled: 1-line block ×6, first 2 shown]
	ds_read2_b64 v[48:51], v216 offset0:92 offset1:217
	ds_read2_b64 v[20:23], v210 offset0:86 offset1:211
	;; [unrolled: 1-line block ×12, first 2 shown]
	s_waitcnt lgkmcnt(0)
	s_barrier
	ds_write2_b64 v219, v[84:85], v[226:227] offset1:15
	v_add_f64 v[84:85], v[168:169], v[152:153]
	v_fmac_f64_e32 v[166:167], -0.5, v[84:85]
	v_add_f64 v[84:85], v[148:149], -v[168:169]
	v_add_f64 v[148:149], v[150:151], -v[152:153]
	v_add_f64 v[84:85], v[84:85], v[148:149]
	v_fma_f64 v[148:149], s[10:11], v[220:221], v[166:167]
	v_fmac_f64_e32 v[166:167], s[14:15], v[220:221]
	v_fmac_f64_e32 v[148:149], s[18:19], v[86:87]
	;; [unrolled: 1-line block ×6, first 2 shown]
	v_add_f64 v[86:87], v[100:101], -v[146:147]
	v_add_f64 v[100:101], v[142:143], -v[144:145]
	;; [unrolled: 1-line block ×4, first 2 shown]
	v_add_f64 v[142:143], v[84:85], v[142:143]
	v_add_f64 v[84:85], v[104:105], v[120:121]
	v_fma_f64 v[84:85], -0.5, v[84:85], v[164:165]
	v_add_f64 v[146:147], v[164:165], v[78:79]
	v_fma_f64 v[144:145], s[14:15], v[86:87], v[84:85]
	v_add_f64 v[146:147], v[146:147], v[104:105]
	v_fmac_f64_e32 v[224:225], s[4:5], v[220:221]
	v_fmac_f64_e32 v[144:145], s[18:19], v[100:101]
	v_add_f64 v[146:147], v[146:147], v[120:121]
	v_fmac_f64_e32 v[224:225], s[12:13], v[222:223]
	v_fmac_f64_e32 v[144:145], s[12:13], v[142:143]
	v_add_f64 v[146:147], v[146:147], v[138:139]
	ds_write2_b64 v219, v[148:149], v[166:167] offset0:30 offset1:45
	ds_write_b64 v219, v[224:225] offset:480
	ds_write2_b64 v217, v[146:147], v[144:145] offset1:15
	v_add_f64 v[144:145], v[78:79], v[138:139]
	v_fmac_f64_e32 v[164:165], -0.5, v[144:145]
	v_add_f64 v[78:79], v[104:105], -v[78:79]
	v_add_f64 v[104:105], v[120:121], -v[138:139]
	v_add_f64 v[78:79], v[78:79], v[104:105]
	v_fma_f64 v[104:105], s[10:11], v[100:101], v[164:165]
	v_fmac_f64_e32 v[164:165], s[14:15], v[100:101]
	v_fmac_f64_e32 v[104:105], s[18:19], v[86:87]
	;; [unrolled: 1-line block ×6, first 2 shown]
	v_add_f64 v[78:79], v[70:71], -v[62:63]
	v_add_f64 v[86:87], v[116:117], -v[102:103]
	v_add_f64 v[78:79], v[78:79], v[86:87]
	v_add_f64 v[86:87], v[62:63], v[102:103]
	v_add_f64 v[76:77], v[76:77], -v[128:129]
	v_fma_f64 v[86:87], -0.5, v[86:87], v[160:161]
	v_fmac_f64_e32 v[84:85], s[4:5], v[100:101]
	v_add_f64 v[64:65], v[64:65], -v[118:119]
	v_fma_f64 v[100:101], s[14:15], v[76:77], v[86:87]
	v_fmac_f64_e32 v[86:87], s[10:11], v[76:77]
	v_fmac_f64_e32 v[100:101], s[18:19], v[64:65]
	;; [unrolled: 1-line block ×5, first 2 shown]
	v_add_f64 v[78:79], v[160:161], v[70:71]
	ds_write2_b64 v217, v[104:105], v[164:165] offset0:30 offset1:45
	v_add_f64 v[104:105], v[70:71], v[116:117]
	v_add_f64 v[78:79], v[78:79], v[62:63]
	v_fmac_f64_e32 v[160:161], -0.5, v[104:105]
	v_add_f64 v[62:63], v[62:63], -v[70:71]
	v_add_f64 v[70:71], v[78:79], v[102:103]
	v_add_f64 v[78:79], v[102:103], -v[116:117]
	v_add_f64 v[62:63], v[62:63], v[78:79]
	v_fma_f64 v[78:79], s[10:11], v[64:65], v[160:161]
	v_fmac_f64_e32 v[160:161], s[14:15], v[64:65]
	v_fmac_f64_e32 v[78:79], s[18:19], v[76:77]
	;; [unrolled: 1-line block ×3, first 2 shown]
	v_add_f64 v[76:77], v[60:61], -v[80:81]
	v_add_f64 v[102:103], v[124:125], -v[108:109]
	v_add_f64 v[76:77], v[76:77], v[102:103]
	v_add_f64 v[102:103], v[80:81], v[108:109]
	v_fmac_f64_e32 v[78:79], s[12:13], v[62:63]
	v_fmac_f64_e32 v[160:161], s[12:13], v[62:63]
	v_add_f64 v[62:63], v[110:111], -v[136:137]
	v_fma_f64 v[102:103], -0.5, v[102:103], v[158:159]
	v_add_f64 v[64:65], v[122:123], -v[126:127]
	v_fma_f64 v[104:105], s[14:15], v[62:63], v[102:103]
	v_fmac_f64_e32 v[102:103], s[10:11], v[62:63]
	v_fmac_f64_e32 v[104:105], s[18:19], v[64:65]
	;; [unrolled: 1-line block ×5, first 2 shown]
	v_add_f64 v[76:77], v[158:159], v[60:61]
	v_add_f64 v[110:111], v[60:61], v[124:125]
	v_fmac_f64_e32 v[158:159], -0.5, v[110:111]
	v_add_f64 v[76:77], v[76:77], v[80:81]
	v_add_f64 v[60:61], v[80:81], -v[60:61]
	v_add_f64 v[80:81], v[108:109], -v[124:125]
	v_add_f64 v[60:61], v[60:61], v[80:81]
	v_fma_f64 v[80:81], s[10:11], v[64:65], v[158:159]
	v_fmac_f64_e32 v[158:159], s[14:15], v[64:65]
	v_fmac_f64_e32 v[80:81], s[18:19], v[62:63]
	;; [unrolled: 1-line block ×3, first 2 shown]
	v_add_f64 v[62:63], v[24:25], -v[52:53]
	v_add_f64 v[64:65], v[72:73], -v[54:55]
	v_add_f64 v[62:63], v[62:63], v[64:65]
	v_add_f64 v[64:65], v[52:53], v[54:55]
	v_add_f64 v[56:57], v[56:57], -v[114:115]
	v_fma_f64 v[64:65], -0.5, v[64:65], v[156:157]
	v_fmac_f64_e32 v[80:81], s[12:13], v[60:61]
	v_fmac_f64_e32 v[158:159], s[12:13], v[60:61]
	v_add_f64 v[60:61], v[68:69], -v[106:107]
	v_fma_f64 v[68:69], s[14:15], v[56:57], v[64:65]
	v_fmac_f64_e32 v[64:65], s[10:11], v[56:57]
	v_fmac_f64_e32 v[68:69], s[18:19], v[60:61]
	;; [unrolled: 1-line block ×5, first 2 shown]
	v_add_f64 v[62:63], v[156:157], v[24:25]
	v_add_f64 v[106:107], v[24:25], v[72:73]
	v_add_f64 v[62:63], v[62:63], v[52:53]
	v_fmac_f64_e32 v[156:157], -0.5, v[106:107]
	v_add_f64 v[24:25], v[52:53], -v[24:25]
	v_add_f64 v[52:53], v[62:63], v[54:55]
	v_add_f64 v[54:55], v[54:55], -v[72:73]
	v_add_f64 v[24:25], v[24:25], v[54:55]
	v_fma_f64 v[54:55], s[10:11], v[60:61], v[156:157]
	v_fmac_f64_e32 v[156:157], s[14:15], v[60:61]
	v_add_f64 v[60:61], v[26:27], -v[58:59]
	v_add_f64 v[62:63], v[98:99], -v[66:67]
	v_fmac_f64_e32 v[54:55], s[18:19], v[56:57]
	v_fmac_f64_e32 v[156:157], s[4:5], v[56:57]
	v_add_f64 v[60:61], v[60:61], v[62:63]
	v_add_f64 v[62:63], v[58:59], v[66:67]
	v_fmac_f64_e32 v[54:55], s[12:13], v[24:25]
	v_fmac_f64_e32 v[156:157], s[12:13], v[24:25]
	v_add_f64 v[24:25], v[74:75], -v[162:163]
	v_fma_f64 v[62:63], -0.5, v[62:63], v[154:155]
	v_add_f64 v[52:53], v[52:53], v[72:73]
	v_add_f64 v[56:57], v[82:83], -v[112:113]
	v_fma_f64 v[72:73], s[14:15], v[24:25], v[62:63]
	v_fmac_f64_e32 v[62:63], s[10:11], v[24:25]
	v_fmac_f64_e32 v[72:73], s[18:19], v[56:57]
	;; [unrolled: 1-line block ×5, first 2 shown]
	v_add_f64 v[60:61], v[154:155], v[26:27]
	v_add_f64 v[74:75], v[26:27], v[98:99]
	;; [unrolled: 1-line block ×3, first 2 shown]
	v_fmac_f64_e32 v[154:155], -0.5, v[74:75]
	v_add_f64 v[26:27], v[58:59], -v[26:27]
	v_add_f64 v[58:59], v[60:61], v[66:67]
	v_add_f64 v[60:61], v[66:67], -v[98:99]
	v_add_f64 v[26:27], v[26:27], v[60:61]
	v_fma_f64 v[60:61], s[10:11], v[56:57], v[154:155]
	v_fmac_f64_e32 v[154:155], s[14:15], v[56:57]
	v_fmac_f64_e32 v[60:61], s[18:19], v[24:25]
	;; [unrolled: 1-line block ×3, first 2 shown]
	v_add_u32_e32 v24, 0xffffffb5, v172
	v_fmac_f64_e32 v[84:85], s[12:13], v[142:143]
	v_cndmask_b32_e64 v142, v24, v172, s[0:1]
	v_add_f64 v[70:71], v[70:71], v[116:117]
	v_mul_i32_i24_e32 v116, 9, v142
	v_mov_b32_e32 v117, 0
	v_add_f64 v[76:77], v[76:77], v[108:109]
	v_lshl_add_u64 v[108:109], v[116:117], 4, s[8:9]
	v_add_f64 v[76:77], v[76:77], v[124:125]
	v_add_f64 v[58:59], v[58:59], v[98:99]
	v_fmac_f64_e32 v[60:61], s[12:13], v[26:27]
	v_fmac_f64_e32 v[154:155], s[12:13], v[26:27]
	ds_write_b64 v217, v[84:85] offset:480
	ds_write2_b64 v218, v[70:71], v[100:101] offset1:15
	ds_write2_b64 v218, v[78:79], v[160:161] offset0:30 offset1:45
	ds_write_b64 v218, v[86:87] offset:480
	ds_write2_b64 v228, v[76:77], v[104:105] offset1:15
	ds_write2_b64 v228, v[80:81], v[158:159] offset0:30 offset1:45
	;; [unrolled: 3-line block ×4, first 2 shown]
	ds_write_b64 v230, v[62:63] offset:480
	s_waitcnt lgkmcnt(0)
	s_barrier
	global_load_dwordx4 v[52:55], v[108:109], off offset:1200
	s_movk_i32 s0, 0xdb
	v_mul_lo_u16_sdwa v24, v173, s0 dst_sel:DWORD dst_unused:UNUSED_PAD src0_sel:BYTE_0 src1_sel:DWORD
	v_lshrrev_b16_e32 v116, 14, v24
	v_mul_lo_u16_e32 v24, 0x4b, v116
	v_sub_u16_e32 v146, v173, v24
	v_mov_b32_e32 v24, 9
	v_mul_u32_u24_sdwa v24, v146, v24 dst_sel:DWORD dst_unused:UNUSED_PAD src0_sel:BYTE_0 src1_sel:DWORD
	v_lshlrev_b32_e32 v110, 4, v24
	global_load_dwordx4 v[60:63], v110, s[8:9] offset:1200
	global_load_dwordx4 v[56:59], v[108:109], off offset:1232
	global_load_dwordx4 v[72:75], v110, s[8:9] offset:1232
	global_load_dwordx4 v[68:71], v[108:109], off offset:1264
	global_load_dwordx4 v[64:67], v110, s[8:9] offset:1264
	global_load_dwordx4 v[76:79], v110, s[8:9] offset:1152
	s_mov_b32 s0, 0xb4e9
	v_mul_u32_u24_sdwa v24, v174, s0 dst_sel:DWORD dst_unused:UNUSED_PAD src0_sel:WORD_0 src1_sel:DWORD
	v_sub_u16_sdwa v25, v174, v24 dst_sel:DWORD dst_unused:UNUSED_PAD src0_sel:DWORD src1_sel:WORD_1
	v_lshrrev_b16_e32 v25, 1, v25
	v_add_u16_sdwa v24, v25, v24 dst_sel:DWORD dst_unused:UNUSED_PAD src0_sel:DWORD src1_sel:WORD_1
	v_lshrrev_b16_e32 v160, 6, v24
	v_mul_lo_u16_e32 v24, 0x4b, v160
	v_sub_u16_e32 v161, v174, v24
	v_mul_u32_u24_e32 v24, 9, v161
	v_lshlrev_b32_e32 v111, 4, v24
	global_load_dwordx4 v[80:83], v111, s[8:9] offset:1152
	global_load_dwordx4 v[84:87], v110, s[8:9] offset:1168
	;; [unrolled: 1-line block ×5, first 2 shown]
	global_load_dwordx4 v[136:139], v[108:109], off offset:1216
	global_load_dwordx4 v[148:151], v111, s[8:9] offset:1200
	global_load_dwordx4 v[152:155], v110, s[8:9] offset:1216
	ds_read2_b64 v[98:101], v216 offset0:92 offset1:217
	global_load_dwordx4 v[156:159], v111, s[8:9] offset:1216
	ds_read2_b64 v[162:165], v214 offset0:74 offset1:199
	ds_read2_b64 v[166:169], v215 offset0:56 offset1:181
	global_load_dwordx4 v[214:217], v[108:109], off offset:1248
	global_load_dwordx4 v[24:27], v[108:109], off offset:1184
	global_load_dwordx4 v[218:221], v111, s[8:9] offset:1232
	global_load_dwordx4 v[226:229], v111, s[8:9] offset:1248
	;; [unrolled: 1-line block ×4, first 2 shown]
	global_load_dwordx4 v[230:233], v[108:109], off offset:1280
	global_load_dwordx4 v[238:241], v111, s[8:9] offset:1280
	s_movk_i32 s0, 0x4a
	v_cmp_lt_u32_e64 s[0:1], s0, v172
	s_waitcnt vmcnt(23) lgkmcnt(2)
	v_mul_f64 v[102:103], v[98:99], v[54:55]
	v_fma_f64 v[112:113], v[48:49], v[52:53], -v[102:103]
	v_mul_f64 v[102:103], v[48:49], v[54:55]
	v_fmac_f64_e32 v[102:103], v[98:99], v[52:53]
	s_waitcnt vmcnt(22)
	v_mul_f64 v[48:49], v[100:101], v[62:63]
	ds_read2_b64 v[52:55], v213 offset0:116 offset1:241
	v_fma_f64 v[98:99], v[50:51], v[60:61], -v[48:49]
	s_waitcnt vmcnt(21) lgkmcnt(2)
	v_mul_f64 v[48:49], v[162:163], v[58:59]
	v_mul_f64 v[62:63], v[50:51], v[62:63]
	v_fma_f64 v[48:49], v[44:45], v[56:57], -v[48:49]
	v_mul_f64 v[104:105], v[44:45], v[58:59]
	s_waitcnt vmcnt(20)
	v_mul_f64 v[44:45], v[164:165], v[74:75]
	v_fmac_f64_e32 v[62:63], v[100:101], v[60:61]
	v_fma_f64 v[100:101], v[46:47], v[72:73], -v[44:45]
	v_mul_f64 v[58:59], v[46:47], v[74:75]
	s_waitcnt vmcnt(19) lgkmcnt(1)
	v_mul_f64 v[44:45], v[166:167], v[70:71]
	v_fmac_f64_e32 v[104:105], v[162:163], v[56:57]
	v_fmac_f64_e32 v[58:59], v[164:165], v[72:73]
	v_fma_f64 v[50:51], v[40:41], v[68:69], -v[44:45]
	global_load_dwordx4 v[162:165], v111, s[8:9] offset:1264
	v_mul_f64 v[106:107], v[40:41], v[70:71]
	s_waitcnt vmcnt(19)
	v_mul_f64 v[40:41], v[168:169], v[66:67]
	v_fma_f64 v[74:75], v[42:43], v[64:65], -v[40:41]
	s_waitcnt vmcnt(18) lgkmcnt(0)
	v_mul_f64 v[40:41], v[52:53], v[78:79]
	v_mul_f64 v[66:67], v[42:43], v[66:67]
	v_fma_f64 v[56:57], v[36:37], v[76:77], -v[40:41]
	ds_read2_b64 v[40:43], v179 offset0:107 offset1:232
	v_mul_f64 v[60:61], v[36:37], v[78:79]
	s_waitcnt vmcnt(17)
	v_mul_f64 v[36:37], v[54:55], v[82:83]
	v_fma_f64 v[44:45], v[38:39], v[80:81], -v[36:37]
	v_fmac_f64_e32 v[106:107], v[166:167], v[68:69]
	s_waitcnt vmcnt(16) lgkmcnt(0)
	v_mul_f64 v[36:37], v[40:41], v[86:87]
	v_fmac_f64_e32 v[66:67], v[168:169], v[64:65]
	global_load_dwordx4 v[166:169], v[108:109], off offset:1152
	v_mul_f64 v[46:47], v[38:39], v[82:83]
	v_fma_f64 v[82:83], v[32:33], v[84:85], -v[36:37]
	global_load_dwordx4 v[36:39], v[108:109], off offset:1168
	ds_read2_b64 v[68:71], v212 offset0:98 offset1:223
	v_fmac_f64_e32 v[60:61], v[52:53], v[76:77]
	ds_read2_b64 v[76:79], v210 offset0:86 offset1:211
	v_mul_f64 v[72:73], v[32:33], v[86:87]
	s_waitcnt vmcnt(17)
	v_mul_f64 v[32:33], v[42:43], v[120:121]
	v_fma_f64 v[64:65], v[34:35], v[118:119], -v[32:33]
	v_mul_f64 v[32:33], v[34:35], v[120:121]
	s_waitcnt vmcnt(16) lgkmcnt(1)
	v_mul_f64 v[34:35], v[68:69], v[124:125]
	v_fmac_f64_e32 v[46:47], v[54:55], v[80:81]
	v_fmac_f64_e32 v[72:73], v[40:41], v[84:85]
	v_fma_f64 v[54:55], v[28:29], v[122:123], -v[34:35]
	v_mul_f64 v[52:53], v[28:29], v[124:125]
	s_waitcnt vmcnt(15)
	v_mul_f64 v[28:29], v[70:71], v[128:129]
	v_mul_f64 v[40:41], v[30:31], v[128:129]
	v_fmac_f64_e32 v[32:33], v[42:43], v[118:119]
	v_fmac_f64_e32 v[52:53], v[68:69], v[122:123]
	v_fma_f64 v[42:43], v[30:31], v[126:127], -v[28:29]
	v_fmac_f64_e32 v[40:41], v[70:71], v[126:127]
	s_waitcnt vmcnt(14) lgkmcnt(0)
	v_mul_f64 v[28:29], v[78:79], v[138:139]
	ds_read2_b64 v[68:71], v211 offset0:80 offset1:205
	v_fma_f64 v[118:119], v[22:23], v[136:137], -v[28:29]
	v_mul_f64 v[22:23], v[22:23], v[138:139]
	s_waitcnt vmcnt(13)
	v_mul_f64 v[30:31], v[20:21], v[150:151]
	v_fmac_f64_e32 v[22:23], v[78:79], v[136:137]
	v_mul_f64 v[28:29], v[76:77], v[150:151]
	v_fmac_f64_e32 v[30:31], v[76:77], v[148:149]
	ds_read2_b64 v[76:79], v208 offset0:68 offset1:193
	ds_read2_b64 v[120:123], v209 offset0:62 offset1:187
	v_fma_f64 v[34:35], v[20:21], v[148:149], -v[28:29]
	s_waitcnt vmcnt(12) lgkmcnt(2)
	v_mul_f64 v[20:21], v[68:69], v[154:155]
	v_fma_f64 v[20:21], v[16:17], v[152:153], -v[20:21]
	v_mul_f64 v[84:85], v[16:17], v[154:155]
	s_waitcnt vmcnt(11)
	v_mul_f64 v[16:17], v[70:71], v[158:159]
	v_fma_f64 v[16:17], v[18:19], v[156:157], -v[16:17]
	v_mul_f64 v[28:29], v[18:19], v[158:159]
	s_waitcnt vmcnt(10) lgkmcnt(1)
	v_mul_f64 v[18:19], v[78:79], v[216:217]
	v_fmac_f64_e32 v[84:85], v[68:69], v[152:153]
	v_fma_f64 v[18:19], v[14:15], v[214:215], -v[18:19]
	v_mul_f64 v[14:15], v[14:15], v[216:217]
	s_waitcnt vmcnt(8)
	v_mul_f64 v[68:69], v[76:77], v[220:221]
	v_fmac_f64_e32 v[28:29], v[70:71], v[156:157]
	v_fmac_f64_e32 v[14:15], v[78:79], v[214:215]
	v_fma_f64 v[78:79], v[12:13], v[218:219], -v[68:69]
	v_mul_f64 v[68:69], v[12:13], v[220:221]
	s_waitcnt vmcnt(6) lgkmcnt(0)
	v_mul_f64 v[12:13], v[120:121], v[224:225]
	v_mul_f64 v[108:109], v[8:9], v[224:225]
	ds_read2_b64 v[124:127], v171 offset0:50 offset1:175
	v_mul_f64 v[70:71], v[10:11], v[228:229]
	v_fma_f64 v[12:13], v[8:9], v[222:223], -v[12:13]
	v_fmac_f64_e32 v[108:109], v[120:121], v[222:223]
	v_mul_f64 v[8:9], v[122:123], v[228:229]
	v_fmac_f64_e32 v[70:71], v[122:123], v[226:227]
	ds_read2_b64 v[120:123], v206 offset0:44 offset1:169
	v_fmac_f64_e32 v[68:69], v[76:77], v[218:219]
	v_fma_f64 v[8:9], v[10:11], v[226:227], -v[8:9]
	s_waitcnt vmcnt(4) lgkmcnt(1)
	v_mul_f64 v[10:11], v[126:127], v[232:233]
	v_fma_f64 v[10:11], v[6:7], v[230:231], -v[10:11]
	v_mul_f64 v[6:7], v[6:7], v[232:233]
	v_mul_f64 v[110:111], v[0:1], v[236:237]
	v_fmac_f64_e32 v[6:7], v[126:127], v[230:231]
	s_waitcnt lgkmcnt(0)
	v_fmac_f64_e32 v[110:111], v[120:121], v[234:235]
	ds_read_b64 v[126:127], v203
	s_waitcnt vmcnt(2)
	v_mul_f64 v[76:77], v[124:125], v[164:165]
	v_fma_f64 v[86:87], v[4:5], v[162:163], -v[76:77]
	v_mul_f64 v[80:81], v[4:5], v[164:165]
	v_mul_f64 v[4:5], v[120:121], v[236:237]
	ds_read_b64 v[120:121], v200
	v_fma_f64 v[4:5], v[0:1], v[234:235], -v[4:5]
	v_mul_f64 v[0:1], v[122:123], v[240:241]
	v_fma_f64 v[0:1], v[2:3], v[238:239], -v[0:1]
	v_mul_f64 v[76:77], v[2:3], v[240:241]
	ds_read_b64 v[2:3], v170
	v_fmac_f64_e32 v[76:77], v[122:123], v[238:239]
	v_fmac_f64_e32 v[80:81], v[124:125], v[162:163]
	v_add_f64 v[162:163], v[22:23], -v[14:15]
	v_add_f64 v[154:155], v[102:103], -v[104:105]
	s_waitcnt vmcnt(1) lgkmcnt(2)
	v_mul_f64 v[114:115], v[126:127], v[168:169]
	v_fma_f64 v[114:115], v[140:141], v[166:167], -v[114:115]
	v_mul_f64 v[124:125], v[140:141], v[168:169]
	s_waitcnt vmcnt(0) lgkmcnt(1)
	v_mul_f64 v[122:123], v[120:121], v[38:39]
	v_mul_f64 v[138:139], v[96:97], v[38:39]
	v_fma_f64 v[122:123], v[96:97], v[36:37], -v[122:123]
	v_fmac_f64_e32 v[138:139], v[120:121], v[36:37]
	s_waitcnt lgkmcnt(0)
	v_mul_f64 v[36:37], v[2:3], v[26:27]
	v_mul_f64 v[26:27], v[94:95], v[26:27]
	v_fma_f64 v[36:37], v[94:95], v[24:25], -v[36:37]
	v_fmac_f64_e32 v[26:27], v[2:3], v[24:25]
	v_add_f64 v[2:3], v[122:123], -v[112:113]
	v_add_f64 v[24:25], v[50:51], -v[48:49]
	v_add_f64 v[38:39], v[2:3], v[24:25]
	v_add_f64 v[2:3], v[36:37], -v[118:119]
	v_add_f64 v[24:25], v[10:11], -v[18:19]
	v_add_f64 v[96:97], v[2:3], v[24:25]
	;; [unrolled: 3-line block ×3, first 2 shown]
	v_mov_b32_e32 v2, 0x1770
	v_cndmask_b32_e64 v2, 0, v2, s[0:1]
	v_lshlrev_b32_e32 v3, 3, v142
	v_add3_u32 v224, 0, v2, v3
	v_add_f64 v[2:3], v[112:113], v[48:49]
	v_add_f64 v[24:25], v[114:115], v[36:37]
	v_fma_f64 v[148:149], -0.5, v[2:3], v[92:93]
	v_add_f64 v[2:3], v[92:93], v[122:123]
	v_add_f64 v[24:25], v[24:25], v[118:119]
	;; [unrolled: 1-line block ×4, first 2 shown]
	v_fmac_f64_e32 v[124:125], v[126:127], v[166:167]
	v_add_f64 v[2:3], v[2:3], v[48:49]
	v_add_f64 v[164:165], v[24:25], v[10:11]
	;; [unrolled: 1-line block ×5, first 2 shown]
	v_fma_f64 v[140:141], -0.5, v[24:25], v[124:125]
	v_add_f64 v[166:167], v[36:37], -v[10:11]
	v_fma_f64 v[94:95], -0.5, v[2:3], v[114:115]
	v_add_f64 v[158:159], v[26:27], -v[6:7]
	v_add_f64 v[168:169], v[118:119], -v[18:19]
	v_fma_f64 v[24:25], s[14:15], v[166:167], v[140:141]
	v_add_f64 v[150:151], v[138:139], -v[106:107]
	v_fma_f64 v[2:3], s[10:11], v[158:159], v[94:95]
	v_fmac_f64_e32 v[24:25], s[18:19], v[168:169]
	v_fma_f64 v[152:153], s[10:11], v[150:151], v[148:149]
	v_fmac_f64_e32 v[2:3], s[4:5], v[162:163]
	v_fmac_f64_e32 v[24:25], s[12:13], v[120:121]
	s_mov_b32 s0, 0x9b97f4a8
	v_fmac_f64_e32 v[152:153], s[4:5], v[154:155]
	v_fmac_f64_e32 v[2:3], s[12:13], v[96:97]
	s_mov_b32 s1, 0x3fe9e377
	v_mul_f64 v[170:171], v[24:25], s[4:5]
	v_fmac_f64_e32 v[152:153], s[12:13], v[38:39]
	v_fmac_f64_e32 v[170:171], s[0:1], v[2:3]
	v_add_f64 v[142:143], v[156:157], v[164:165]
	v_add_f64 v[144:145], v[152:153], v[170:171]
	ds_read_b64 v[128:129], v201
	ds_read_b64 v[126:127], v202
	;; [unrolled: 1-line block ×3, first 2 shown]
	s_waitcnt lgkmcnt(0)
	s_barrier
	ds_write2_b64 v224, v[142:143], v[144:145] offset1:75
	v_add_f64 v[142:143], v[122:123], v[50:51]
	v_fmac_f64_e32 v[92:93], -0.5, v[142:143]
	v_add_f64 v[142:143], v[112:113], -v[122:123]
	v_add_f64 v[144:145], v[48:49], -v[50:51]
	v_fma_f64 v[208:209], s[14:15], v[154:155], v[92:93]
	v_fmac_f64_e32 v[92:93], s[10:11], v[154:155]
	v_add_f64 v[142:143], v[142:143], v[144:145]
	v_fmac_f64_e32 v[208:209], s[4:5], v[150:151]
	v_fmac_f64_e32 v[92:93], s[18:19], v[150:151]
	;; [unrolled: 1-line block ×4, first 2 shown]
	v_add_f64 v[142:143], v[36:37], v[10:11]
	v_fmac_f64_e32 v[114:115], -0.5, v[142:143]
	v_add_f64 v[36:37], v[118:119], -v[36:37]
	v_add_f64 v[10:11], v[18:19], -v[10:11]
	v_fma_f64 v[142:143], s[14:15], v[162:163], v[114:115]
	v_fmac_f64_e32 v[114:115], s[10:11], v[162:163]
	v_add_f64 v[10:11], v[36:37], v[10:11]
	v_fmac_f64_e32 v[142:143], s[4:5], v[158:159]
	v_fmac_f64_e32 v[114:115], s[18:19], v[158:159]
	v_add_f64 v[18:19], v[26:27], v[6:7]
	v_fmac_f64_e32 v[142:143], s[12:13], v[10:11]
	v_fmac_f64_e32 v[114:115], s[12:13], v[10:11]
	v_add_f64 v[10:11], v[124:125], v[26:27]
	v_fmac_f64_e32 v[124:125], -0.5, v[18:19]
	v_add_f64 v[18:19], v[22:23], -v[26:27]
	v_add_f64 v[26:27], v[14:15], -v[6:7]
	v_fma_f64 v[144:145], s[10:11], v[168:169], v[124:125]
	v_add_f64 v[18:19], v[18:19], v[26:27]
	v_fmac_f64_e32 v[124:125], s[14:15], v[168:169]
	v_fmac_f64_e32 v[144:145], s[18:19], v[166:167]
	;; [unrolled: 1-line block ×9, first 2 shown]
	v_mul_f64 v[18:19], v[144:145], s[10:11]
	v_mul_f64 v[26:27], v[114:115], s[12:13]
	v_fmac_f64_e32 v[148:149], s[18:19], v[154:155]
	v_fmac_f64_e32 v[94:95], s[12:13], v[96:97]
	;; [unrolled: 1-line block ×4, first 2 shown]
	v_fma_f64 v[26:27], v[124:125], s[10:11], -v[26:27]
	v_fmac_f64_e32 v[148:149], s[12:13], v[38:39]
	v_fmac_f64_e32 v[140:141], s[12:13], v[120:121]
	v_mul_f64 v[38:39], v[94:95], s[0:1]
	v_add_f64 v[36:37], v[208:209], v[18:19]
	v_add_f64 v[118:119], v[92:93], v[26:27]
	v_fma_f64 v[38:39], v[140:141], s[4:5], -v[38:39]
	ds_write2_b64 v224, v[36:37], v[118:119] offset0:150 offset1:225
	v_add_f64 v[36:37], v[156:157], -v[164:165]
	v_add_u32_e32 v225, 0x800, v224
	v_add_f64 v[96:97], v[148:149], v[38:39]
	ds_write2_b64 v225, v[96:97], v[36:37] offset0:44 offset1:119
	v_add_f64 v[36:37], v[152:153], -v[170:171]
	v_add_f64 v[18:19], v[208:209], -v[18:19]
	v_add_u32_e32 v226, 0xc00, v224
	ds_write2_b64 v226, v[36:37], v[18:19] offset0:66 offset1:141
	v_add_f64 v[18:19], v[92:93], -v[26:27]
	v_add_f64 v[26:27], v[148:149], -v[38:39]
	v_add_u32_e32 v227, 0x1000, v224
	v_add_f64 v[150:151], v[56:57], v[54:55]
	ds_write2_b64 v227, v[18:19], v[26:27] offset0:88 offset1:163
	v_add_f64 v[18:19], v[82:83], -v[98:99]
	v_add_f64 v[26:27], v[74:75], -v[100:101]
	v_add_f64 v[150:151], v[150:151], v[20:21]
	v_add_f64 v[18:19], v[18:19], v[26:27]
	v_add_f64 v[26:27], v[54:55], -v[20:21]
	v_add_f64 v[36:37], v[4:5], -v[12:13]
	v_add_f64 v[150:151], v[150:151], v[12:13]
	v_add_f64 v[26:27], v[26:27], v[36:37]
	;; [unrolled: 4-line block ×3, first 2 shown]
	v_add_f64 v[36:37], v[36:37], v[38:39]
	v_lshlrev_b32_sdwa v38, v207, v146 dst_sel:DWORD dst_unused:UNUSED_PAD src0_sel:DWORD src1_sel:BYTE_0
	v_mul_u32_u24_e32 v39, 0x1770, v116
	v_add_f64 v[146:147], v[20:21], v[12:13]
	v_fma_f64 v[150:151], -0.5, v[150:151], v[60:61]
	v_add_f64 v[168:169], v[54:55], -v[4:5]
	v_add3_u32 v116, 0, v39, v38
	v_add_f64 v[38:39], v[98:99], v[100:101]
	v_fma_f64 v[146:147], -0.5, v[146:147], v[56:57]
	v_add_f64 v[162:163], v[52:53], -v[110:111]
	v_add_f64 v[170:171], v[20:21], -v[12:13]
	v_fma_f64 v[152:153], s[14:15], v[168:169], v[150:151]
	v_fma_f64 v[38:39], -0.5, v[38:39], v[90:91]
	v_add_f64 v[92:93], v[72:73], -v[66:67]
	v_add_f64 v[120:121], v[90:91], v[82:83]
	v_fma_f64 v[148:149], s[10:11], v[162:163], v[146:147]
	v_add_f64 v[164:165], v[84:85], -v[108:109]
	v_fmac_f64_e32 v[152:153], s[18:19], v[170:171]
	v_fma_f64 v[96:97], s[10:11], v[92:93], v[38:39]
	v_add_f64 v[118:119], v[62:63], -v[58:59]
	v_add_f64 v[120:121], v[120:121], v[98:99]
	v_fmac_f64_e32 v[148:149], s[4:5], v[164:165]
	v_fmac_f64_e32 v[152:153], s[12:13], v[36:37]
	;; [unrolled: 1-line block ×3, first 2 shown]
	v_add_f64 v[120:121], v[120:121], v[100:101]
	v_fmac_f64_e32 v[148:149], s[12:13], v[26:27]
	v_mul_f64 v[206:207], v[152:153], s[4:5]
	v_fmac_f64_e32 v[96:97], s[12:13], v[18:19]
	v_add_f64 v[120:121], v[120:121], v[74:75]
	v_fmac_f64_e32 v[206:207], s[0:1], v[148:149]
	v_add_f64 v[154:155], v[120:121], v[166:167]
	v_add_f64 v[156:157], v[96:97], v[206:207]
	ds_write2_b64 v116, v[154:155], v[156:157] offset1:75
	v_add_f64 v[154:155], v[82:83], v[74:75]
	v_fmac_f64_e32 v[90:91], -0.5, v[154:155]
	v_add_f64 v[154:155], v[98:99], -v[82:83]
	v_add_f64 v[156:157], v[100:101], -v[74:75]
	v_fma_f64 v[208:209], s[14:15], v[118:119], v[90:91]
	v_fmac_f64_e32 v[90:91], s[10:11], v[118:119]
	v_add_f64 v[154:155], v[154:155], v[156:157]
	v_fmac_f64_e32 v[208:209], s[4:5], v[92:93]
	v_fmac_f64_e32 v[90:91], s[18:19], v[92:93]
	;; [unrolled: 1-line block ×4, first 2 shown]
	v_add_f64 v[154:155], v[54:55], v[4:5]
	v_fmac_f64_e32 v[56:57], -0.5, v[154:155]
	v_add_f64 v[20:21], v[20:21], -v[54:55]
	v_add_f64 v[4:5], v[12:13], -v[4:5]
	v_fma_f64 v[154:155], s[14:15], v[164:165], v[56:57]
	v_fmac_f64_e32 v[56:57], s[10:11], v[164:165]
	v_add_f64 v[4:5], v[20:21], v[4:5]
	v_fmac_f64_e32 v[154:155], s[4:5], v[162:163]
	v_fmac_f64_e32 v[56:57], s[18:19], v[162:163]
	v_fmac_f64_e32 v[154:155], s[12:13], v[4:5]
	v_fmac_f64_e32 v[56:57], s[12:13], v[4:5]
	v_add_f64 v[4:5], v[52:53], v[110:111]
	v_add_f64 v[156:157], v[60:61], v[52:53]
	v_fmac_f64_e32 v[60:61], -0.5, v[4:5]
	v_add_f64 v[4:5], v[84:85], -v[52:53]
	v_add_f64 v[12:13], v[108:109], -v[110:111]
	v_fma_f64 v[158:159], s[10:11], v[170:171], v[60:61]
	v_add_f64 v[4:5], v[4:5], v[12:13]
	v_fmac_f64_e32 v[60:61], s[14:15], v[170:171]
	v_fmac_f64_e32 v[158:159], s[18:19], v[168:169]
	;; [unrolled: 1-line block ×5, first 2 shown]
	v_mul_f64 v[4:5], v[158:159], s[10:11]
	v_mul_f64 v[12:13], v[56:57], s[12:13]
	v_fmac_f64_e32 v[146:147], s[14:15], v[162:163]
	v_fmac_f64_e32 v[4:5], s[12:13], v[154:155]
	v_fma_f64 v[12:13], v[60:61], s[10:11], -v[12:13]
	v_fmac_f64_e32 v[146:147], s[18:19], v[164:165]
	v_fmac_f64_e32 v[150:151], s[10:11], v[168:169]
	v_add_f64 v[20:21], v[208:209], v[4:5]
	v_add_f64 v[52:53], v[90:91], v[12:13]
	v_fmac_f64_e32 v[38:39], s[14:15], v[92:93]
	v_fmac_f64_e32 v[146:147], s[12:13], v[26:27]
	;; [unrolled: 1-line block ×3, first 2 shown]
	ds_write2_b64 v116, v[20:21], v[52:53] offset0:150 offset1:225
	v_fmac_f64_e32 v[38:39], s[18:19], v[118:119]
	v_fmac_f64_e32 v[150:151], s[12:13], v[36:37]
	v_mul_f64 v[20:21], v[146:147], s[0:1]
	v_fmac_f64_e32 v[38:39], s[12:13], v[18:19]
	v_fma_f64 v[20:21], v[150:151], s[4:5], -v[20:21]
	v_add_f64 v[18:19], v[120:121], -v[166:167]
	v_add_u32_e32 v228, 0x800, v116
	v_add_f64 v[26:27], v[38:39], v[20:21]
	ds_write2_b64 v228, v[26:27], v[18:19] offset0:44 offset1:119
	v_add_f64 v[18:19], v[96:97], -v[206:207]
	v_add_f64 v[4:5], v[208:209], -v[4:5]
	v_add_u32_e32 v229, 0xc00, v116
	ds_write2_b64 v229, v[18:19], v[4:5] offset0:66 offset1:141
	v_add_f64 v[4:5], v[90:91], -v[12:13]
	v_add_f64 v[12:13], v[38:39], -v[20:21]
	v_add_u32_e32 v230, 0x1000, v116
	ds_write2_b64 v230, v[4:5], v[12:13] offset0:88 offset1:163
	v_add_f64 v[4:5], v[64:65], -v[34:35]
	v_add_f64 v[12:13], v[86:87], -v[78:79]
	v_add_f64 v[4:5], v[4:5], v[12:13]
	v_add_f64 v[12:13], v[42:43], -v[16:17]
	v_add_f64 v[18:19], v[0:1], -v[8:9]
	v_add_f64 v[12:13], v[12:13], v[18:19]
	;; [unrolled: 3-line block ×3, first 2 shown]
	v_add_f64 v[18:19], v[18:19], v[20:21]
	v_mul_u32_u24_e32 v20, 0x1770, v160
	v_lshlrev_b32_e32 v21, 3, v161
	v_add_f64 v[54:55], v[16:17], v[8:9]
	v_fma_f64 v[164:165], -0.5, v[96:97], v[46:47]
	v_add_f64 v[96:97], v[42:43], -v[0:1]
	v_add3_u32 v231, 0, v20, v21
	v_add_f64 v[20:21], v[34:35], v[78:79]
	v_fma_f64 v[160:161], -0.5, v[54:55], v[44:45]
	v_add_f64 v[54:55], v[40:41], -v[76:77]
	v_add_f64 v[118:119], v[16:17], -v[8:9]
	v_fma_f64 v[166:167], s[14:15], v[96:97], v[164:165]
	v_fma_f64 v[20:21], -0.5, v[20:21], v[88:89]
	v_add_f64 v[26:27], v[32:33], -v[80:81]
	v_add_f64 v[52:53], v[88:89], v[64:65]
	v_fma_f64 v[162:163], s[10:11], v[54:55], v[160:161]
	v_add_f64 v[90:91], v[28:29], -v[70:71]
	v_add_f64 v[92:93], v[44:45], v[42:43]
	v_fmac_f64_e32 v[166:167], s[18:19], v[118:119]
	v_fma_f64 v[36:37], s[10:11], v[26:27], v[20:21]
	v_add_f64 v[38:39], v[30:31], -v[68:69]
	v_add_f64 v[52:53], v[52:53], v[34:35]
	v_fmac_f64_e32 v[162:163], s[4:5], v[90:91]
	v_add_f64 v[92:93], v[92:93], v[16:17]
	v_fmac_f64_e32 v[166:167], s[12:13], v[18:19]
	v_fmac_f64_e32 v[36:37], s[4:5], v[38:39]
	v_add_f64 v[52:53], v[52:53], v[78:79]
	v_fmac_f64_e32 v[162:163], s[12:13], v[12:13]
	v_add_f64 v[92:93], v[92:93], v[8:9]
	v_mul_f64 v[120:121], v[166:167], s[4:5]
	v_fmac_f64_e32 v[36:37], s[12:13], v[4:5]
	v_add_f64 v[52:53], v[52:53], v[86:87]
	v_add_f64 v[92:93], v[92:93], v[0:1]
	v_fmac_f64_e32 v[120:121], s[0:1], v[162:163]
	v_add_f64 v[168:169], v[52:53], v[92:93]
	v_add_f64 v[170:171], v[36:37], v[120:121]
	ds_write2_b64 v231, v[168:169], v[170:171] offset1:75
	v_add_f64 v[168:169], v[64:65], v[86:87]
	v_fmac_f64_e32 v[88:89], -0.5, v[168:169]
	v_add_f64 v[168:169], v[34:35], -v[64:65]
	v_add_f64 v[170:171], v[78:79], -v[86:87]
	v_add_f64 v[168:169], v[168:169], v[170:171]
	v_fma_f64 v[170:171], s[14:15], v[38:39], v[88:89]
	v_fmac_f64_e32 v[88:89], s[10:11], v[38:39]
	v_fmac_f64_e32 v[170:171], s[4:5], v[26:27]
	;; [unrolled: 1-line block ×5, first 2 shown]
	v_add_f64 v[168:169], v[42:43], v[0:1]
	v_fmac_f64_e32 v[44:45], -0.5, v[168:169]
	v_add_f64 v[16:17], v[16:17], -v[42:43]
	v_add_f64 v[0:1], v[8:9], -v[0:1]
	v_fma_f64 v[168:169], s[14:15], v[90:91], v[44:45]
	v_fmac_f64_e32 v[44:45], s[10:11], v[90:91]
	v_add_f64 v[0:1], v[16:17], v[0:1]
	v_fmac_f64_e32 v[168:169], s[4:5], v[54:55]
	v_fmac_f64_e32 v[44:45], s[18:19], v[54:55]
	;; [unrolled: 1-line block ×4, first 2 shown]
	v_add_f64 v[0:1], v[40:41], v[76:77]
	v_add_f64 v[206:207], v[46:47], v[40:41]
	v_fmac_f64_e32 v[46:47], -0.5, v[0:1]
	v_add_f64 v[0:1], v[28:29], -v[40:41]
	v_add_f64 v[8:9], v[70:71], -v[76:77]
	v_fma_f64 v[208:209], s[10:11], v[118:119], v[46:47]
	v_add_f64 v[0:1], v[0:1], v[8:9]
	v_fmac_f64_e32 v[46:47], s[14:15], v[118:119]
	v_fmac_f64_e32 v[208:209], s[18:19], v[96:97]
	;; [unrolled: 1-line block ×8, first 2 shown]
	v_mul_f64 v[0:1], v[208:209], s[10:11]
	v_mul_f64 v[8:9], v[44:45], s[12:13]
	v_fmac_f64_e32 v[20:21], s[14:15], v[26:27]
	v_fmac_f64_e32 v[160:161], s[12:13], v[12:13]
	;; [unrolled: 1-line block ×4, first 2 shown]
	v_fma_f64 v[8:9], v[46:47], s[10:11], -v[8:9]
	v_fmac_f64_e32 v[20:21], s[18:19], v[38:39]
	v_fmac_f64_e32 v[164:165], s[12:13], v[18:19]
	v_mul_f64 v[12:13], v[160:161], s[0:1]
	v_add_f64 v[16:17], v[170:171], v[0:1]
	v_add_f64 v[40:41], v[88:89], v[8:9]
	v_fmac_f64_e32 v[20:21], s[12:13], v[4:5]
	v_fma_f64 v[12:13], v[164:165], s[4:5], -v[12:13]
	ds_write2_b64 v231, v[16:17], v[40:41] offset0:150 offset1:225
	v_add_f64 v[4:5], v[52:53], -v[92:93]
	v_add_u32_e32 v232, 0x800, v231
	v_add_f64 v[16:17], v[20:21], v[12:13]
	ds_write2_b64 v232, v[16:17], v[4:5] offset0:44 offset1:119
	v_add_f64 v[4:5], v[36:37], -v[120:121]
	v_add_f64 v[0:1], v[170:171], -v[0:1]
	v_add_u32_e32 v233, 0xc00, v231
	ds_write2_b64 v233, v[4:5], v[0:1] offset0:66 offset1:141
	v_add_f64 v[0:1], v[88:89], -v[8:9]
	v_add_f64 v[4:5], v[20:21], -v[12:13]
	v_add_u32_e32 v234, 0x1000, v231
	ds_write2_b64 v234, v[0:1], v[4:5] offset0:88 offset1:163
	v_add_f64 v[0:1], v[138:139], -v[102:103]
	v_add_f64 v[4:5], v[106:107], -v[104:105]
	v_add_f64 v[212:213], v[0:1], v[4:5]
	v_add_f64 v[0:1], v[10:11], v[22:23]
	;; [unrolled: 1-line block ×5, first 2 shown]
	v_add_f64 v[170:171], v[122:123], -v[50:51]
	v_fma_f64 v[218:219], -0.5, v[0:1], v[136:137]
	v_add_f64 v[0:1], v[136:137], v[138:139]
	v_add_f64 v[210:211], v[112:113], -v[48:49]
	v_fma_f64 v[220:221], s[14:15], v[170:171], v[218:219]
	v_add_f64 v[0:1], v[0:1], v[102:103]
	v_mul_f64 v[216:217], v[2:3], s[18:19]
	v_fmac_f64_e32 v[220:221], s[18:19], v[210:211]
	v_add_f64 v[0:1], v[0:1], v[104:105]
	v_fmac_f64_e32 v[216:217], s[0:1], v[24:25]
	v_fmac_f64_e32 v[220:221], s[12:13], v[212:213]
	v_add_f64 v[222:223], v[0:1], v[106:107]
	s_waitcnt lgkmcnt(0)
	s_barrier
	ds_read_b64 v[112:113], v202
	ds_read_b64 v[96:97], v203
	;; [unrolled: 1-line block ×7, first 2 shown]
	ds_read_b64 v[92:93], v190 offset:29000
	ds_read2_b64 v[4:7], v192 offset0:95 offset1:220
	ds_read2_b64 v[0:3], v193 offset0:77 offset1:202
	;; [unrolled: 1-line block ×11, first 2 shown]
	v_add_f64 v[200:201], v[222:223], v[214:215]
	v_add_f64 v[202:203], v[220:221], v[216:217]
	s_waitcnt lgkmcnt(0)
	s_barrier
	ds_write2_b64 v224, v[200:201], v[202:203] offset1:75
	v_add_f64 v[200:201], v[138:139], v[106:107]
	v_fmac_f64_e32 v[136:137], -0.5, v[200:201]
	v_add_f64 v[102:103], v[102:103], -v[138:139]
	v_add_f64 v[104:105], v[104:105], -v[106:107]
	v_add_f64 v[102:103], v[102:103], v[104:105]
	v_fma_f64 v[104:105], s[10:11], v[210:211], v[136:137]
	v_fmac_f64_e32 v[136:137], s[14:15], v[210:211]
	v_fmac_f64_e32 v[104:105], s[18:19], v[170:171]
	;; [unrolled: 1-line block ×3, first 2 shown]
	v_add_f64 v[74:75], v[82:83], -v[74:75]
	v_add_f64 v[82:83], v[98:99], -v[100:101]
	v_add_f64 v[98:99], v[72:73], -v[62:63]
	v_add_f64 v[100:101], v[66:67], -v[58:59]
	v_fmac_f64_e32 v[104:105], s[12:13], v[102:103]
	v_fmac_f64_e32 v[136:137], s[12:13], v[102:103]
	v_mul_f64 v[102:103], v[142:143], s[14:15]
	v_mul_f64 v[106:107], v[124:125], s[12:13]
	v_add_f64 v[98:99], v[98:99], v[100:101]
	v_add_f64 v[100:101], v[62:63], v[58:59]
	v_fmac_f64_e32 v[102:103], s[12:13], v[144:145]
	v_fma_f64 v[106:107], v[114:115], s[14:15], -v[106:107]
	v_fma_f64 v[100:101], -0.5, v[100:101], v[128:129]
	v_add_f64 v[114:115], v[104:105], v[102:103]
	v_add_f64 v[124:125], v[136:137], v[106:107]
	v_add_f64 v[102:103], v[104:105], -v[102:103]
	v_add_f64 v[104:105], v[136:137], -v[106:107]
	v_fma_f64 v[136:137], s[14:15], v[74:75], v[100:101]
	v_fmac_f64_e32 v[100:101], s[10:11], v[74:75]
	v_fmac_f64_e32 v[136:137], s[18:19], v[82:83]
	;; [unrolled: 1-line block ×5, first 2 shown]
	v_add_f64 v[98:99], v[128:129], v[72:73]
	v_mul_f64 v[60:61], v[60:61], s[12:13]
	v_add_f64 v[64:65], v[64:65], -v[86:87]
	v_add_f64 v[34:35], v[34:35], -v[78:79]
	v_add_f64 v[78:79], v[32:33], -v[30:31]
	v_add_f64 v[86:87], v[80:81], -v[68:69]
	v_add_f64 v[138:139], v[72:73], v[66:67]
	v_add_f64 v[98:99], v[98:99], v[62:63]
	v_fma_f64 v[56:57], v[56:57], s[14:15], -v[60:61]
	v_mul_f64 v[60:61], v[150:151], s[0:1]
	v_add_f64 v[78:79], v[78:79], v[86:87]
	v_add_f64 v[86:87], v[30:31], v[68:69]
	v_fmac_f64_e32 v[128:129], -0.5, v[138:139]
	v_add_f64 v[62:63], v[62:63], -v[72:73]
	v_add_f64 v[72:73], v[98:99], v[58:59]
	v_add_f64 v[58:59], v[58:59], -v[66:67]
	v_fma_f64 v[60:61], v[146:147], s[18:19], -v[60:61]
	v_fma_f64 v[86:87], -0.5, v[86:87], v[126:127]
	v_add_f64 v[58:59], v[62:63], v[58:59]
	v_fma_f64 v[62:63], s[10:11], v[82:83], v[128:129]
	v_fmac_f64_e32 v[128:129], s[14:15], v[82:83]
	v_add_f64 v[98:99], v[100:101], v[60:61]
	v_add_f64 v[60:61], v[100:101], -v[60:61]
	v_fma_f64 v[100:101], s[14:15], v[64:65], v[86:87]
	v_fmac_f64_e32 v[86:87], s[10:11], v[64:65]
	v_fmac_f64_e32 v[62:63], s[18:19], v[74:75]
	;; [unrolled: 1-line block ×7, first 2 shown]
	v_add_f64 v[58:59], v[156:157], v[84:85]
	v_fmac_f64_e32 v[100:101], s[12:13], v[78:79]
	v_fmac_f64_e32 v[86:87], s[12:13], v[78:79]
	v_add_f64 v[78:79], v[126:127], v[32:33]
	v_add_f64 v[58:59], v[58:59], v[108:109]
	;; [unrolled: 1-line block ×4, first 2 shown]
	v_fmac_f64_e32 v[126:127], -0.5, v[108:109]
	v_add_f64 v[30:31], v[30:31], -v[32:33]
	v_add_f64 v[32:33], v[78:79], v[68:69]
	v_add_f64 v[68:69], v[68:69], -v[80:81]
	v_fmac_f64_e32 v[218:219], s[10:11], v[170:171]
	v_add_f64 v[30:31], v[30:31], v[68:69]
	v_fma_f64 v[68:69], s[10:11], v[34:35], v[126:127]
	v_fmac_f64_e32 v[126:127], s[14:15], v[34:35]
	ds_write2_b64 v224, v[114:115], v[124:125] offset0:150 offset1:225
	v_fmac_f64_e32 v[218:219], s[4:5], v[210:211]
	v_mul_f64 v[114:115], v[140:141], s[0:1]
	v_fmac_f64_e32 v[68:69], s[18:19], v[64:65]
	v_fmac_f64_e32 v[126:127], s[4:5], v[64:65]
	v_add_f64 v[28:29], v[206:207], v[28:29]
	v_mul_f64 v[46:47], v[46:47], s[12:13]
	v_fmac_f64_e32 v[218:219], s[12:13], v[212:213]
	v_fma_f64 v[94:95], v[94:95], s[18:19], -v[114:115]
	v_add_f64 v[72:73], v[72:73], v[66:67]
	v_mul_f64 v[66:67], v[148:149], s[18:19]
	v_mul_f64 v[74:75], v[154:155], s[14:15]
	v_fmac_f64_e32 v[68:69], s[12:13], v[30:31]
	v_fmac_f64_e32 v[126:127], s[12:13], v[30:31]
	v_add_f64 v[28:29], v[28:29], v[70:71]
	v_mul_f64 v[30:31], v[162:163], s[18:19]
	v_mul_f64 v[34:35], v[168:169], s[14:15]
	v_fma_f64 v[44:45], v[44:45], s[14:15], -v[46:47]
	v_mul_f64 v[46:47], v[164:165], s[0:1]
	v_add_f64 v[114:115], v[222:223], -v[214:215]
	v_add_f64 v[106:107], v[218:219], v[94:95]
	v_add_f64 v[58:59], v[58:59], v[110:111]
	v_fmac_f64_e32 v[66:67], s[0:1], v[152:153]
	v_fmac_f64_e32 v[74:75], s[12:13], v[158:159]
	v_add_f64 v[32:33], v[32:33], v[80:81]
	v_add_f64 v[28:29], v[28:29], v[76:77]
	v_fmac_f64_e32 v[30:31], s[0:1], v[166:167]
	v_fmac_f64_e32 v[34:35], s[12:13], v[208:209]
	v_fma_f64 v[46:47], v[160:161], s[18:19], -v[46:47]
	v_add_f64 v[124:125], v[220:221], -v[216:217]
	v_add_f64 v[94:95], v[218:219], -v[94:95]
	v_add_f64 v[82:83], v[72:73], v[58:59]
	v_add_f64 v[58:59], v[72:73], -v[58:59]
	v_add_f64 v[72:73], v[136:137], v[66:67]
	;; [unrolled: 2-line block ×9, first 2 shown]
	v_add_f64 v[46:47], v[86:87], -v[46:47]
	ds_write2_b64 v225, v[106:107], v[114:115] offset0:44 offset1:119
	ds_write2_b64 v226, v[124:125], v[102:103] offset0:66 offset1:141
	;; [unrolled: 1-line block ×3, first 2 shown]
	ds_write2_b64 v116, v[82:83], v[72:73] offset1:75
	ds_write2_b64 v116, v[84:85], v[74:75] offset0:150 offset1:225
	ds_write2_b64 v228, v[98:99], v[58:59] offset0:44 offset1:119
	;; [unrolled: 1-line block ×4, first 2 shown]
	ds_write2_b64 v231, v[64:65], v[32:33] offset1:75
	ds_write2_b64 v231, v[70:71], v[68:69] offset0:150 offset1:225
	ds_write2_b64 v232, v[76:77], v[28:29] offset0:44 offset1:119
	;; [unrolled: 1-line block ×4, first 2 shown]
	s_waitcnt lgkmcnt(0)
	s_barrier
	s_and_saveexec_b64 s[0:1], vcc
	s_cbranch_execz .LBB0_15
; %bb.14:
	v_lshlrev_b32_e32 v116, 2, v184
	v_lshl_add_u64 v[28:29], v[116:117], 4, s[8:9]
	s_mov_b64 s[0:1], 0x2eb0
	v_lshl_add_u64 v[30:31], v[28:29], 0, s[0:1]
	v_add_co_u32_e32 v28, vcc, s20, v28
	global_load_dwordx4 v[56:59], v[30:31], off offset:32
	global_load_dwordx4 v[68:71], v[30:31], off offset:16
	v_addc_co_u32_e32 v29, vcc, 0, v29, vcc
	global_load_dwordx4 v[60:63], v[28:29], off offset:3760
	global_load_dwordx4 v[64:67], v[30:31], off offset:48
	v_lshlrev_b32_e32 v116, 2, v133
	v_lshl_add_u64 v[82:83], v[116:117], 4, s[8:9]
	v_sub_u32_e32 v74, 0, v199
	v_lshl_add_u64 v[98:99], v[82:83], 0, s[0:1]
	v_add_co_u32_e32 v82, vcc, s20, v82
	v_mul_lo_u32 v75, s3, v134
	v_mul_lo_u32 v77, s2, v135
	v_mad_u64_u32 v[124:125], s[2:3], s2, v134, 0
	v_add_u32_e32 v74, v189, v74
	v_addc_co_u32_e32 v83, vcc, 0, v83, vcc
	ds_read2_b64 v[28:31], v193 offset0:77 offset1:202
	ds_read2_b64 v[32:35], v192 offset0:95 offset1:220
	;; [unrolled: 1-line block ×3, first 2 shown]
	ds_read_b64 v[72:73], v190 offset:29000
	ds_read_b64 v[126:127], v190
	v_add3_u32 v125, v125, v77, v75
	ds_read_b64 v[74:75], v74
	global_load_dwordx4 v[78:81], v[98:99], off offset:32
	global_load_dwordx4 v[84:87], v[98:99], off offset:16
	global_load_dwordx4 v[102:105], v[82:83], off offset:3760
	global_load_dwordx4 v[106:109], v[98:99], off offset:48
	v_lshlrev_b32_e32 v116, 2, v132
	v_sub_u32_e32 v76, 0, v198
	v_sub_u32_e32 v94, 0, v197
	;; [unrolled: 1-line block ×5, first 2 shown]
	s_waitcnt vmcnt(7) lgkmcnt(3)
	v_mul_f64 v[98:99], v[56:57], v[44:45]
	s_waitcnt vmcnt(6)
	v_mul_f64 v[82:83], v[68:69], v[28:29]
	v_mul_f64 v[28:29], v[70:71], v[28:29]
	v_mul_f64 v[44:45], v[58:59], v[44:45]
	v_fmac_f64_e32 v[82:83], v[0:1], v[70:71]
	s_waitcnt vmcnt(5)
	v_mul_f64 v[110:111], v[60:61], v[32:33]
	v_fmac_f64_e32 v[98:99], v[8:9], v[58:59]
	s_waitcnt vmcnt(4) lgkmcnt(2)
	v_mul_f64 v[114:115], v[64:65], v[72:73]
	v_mul_f64 v[32:33], v[62:63], v[32:33]
	;; [unrolled: 1-line block ×3, first 2 shown]
	v_fma_f64 v[0:1], v[0:1], v[68:69], -v[28:29]
	v_fma_f64 v[8:9], v[8:9], v[56:57], -v[44:45]
	v_fmac_f64_e32 v[110:111], v[4:5], v[62:63]
	v_fmac_f64_e32 v[114:115], v[92:93], v[66:67]
	v_fma_f64 v[4:5], v[4:5], v[60:61], -v[32:33]
	v_fma_f64 v[28:29], v[92:93], v[64:65], -v[58:59]
	v_add_f64 v[44:45], v[82:83], v[98:99]
	v_add_f64 v[56:57], v[82:83], -v[110:111]
	v_add_f64 v[58:59], v[98:99], -v[114:115]
	;; [unrolled: 1-line block ×3, first 2 shown]
	v_add_f64 v[62:63], v[110:111], v[114:115]
	s_waitcnt lgkmcnt(0)
	v_fma_f64 v[70:71], -0.5, v[44:45], v[74:75]
	v_add_f64 v[44:45], v[110:111], v[74:75]
	v_add_f64 v[32:33], v[0:1], -v[8:9]
	v_add_f64 v[64:65], v[110:111], -v[82:83]
	;; [unrolled: 1-line block ×3, first 2 shown]
	v_add_f64 v[56:57], v[56:57], v[58:59]
	v_fma_f64 v[66:67], -0.5, v[62:63], v[74:75]
	v_fma_f64 v[58:59], s[10:11], v[60:61], v[70:71]
	v_fmac_f64_e32 v[70:71], s[14:15], v[60:61]
	v_add_f64 v[44:45], v[82:83], v[44:45]
	v_add_f64 v[134:135], v[4:5], v[28:29]
	;; [unrolled: 1-line block ×3, first 2 shown]
	v_fma_f64 v[62:63], s[14:15], v[32:33], v[66:67]
	v_fmac_f64_e32 v[66:67], s[10:11], v[32:33]
	v_fmac_f64_e32 v[58:59], s[4:5], v[32:33]
	;; [unrolled: 1-line block ×3, first 2 shown]
	v_add_f64 v[32:33], v[98:99], v[44:45]
	v_fmac_f64_e32 v[58:59], s[12:13], v[64:65]
	v_fmac_f64_e32 v[70:71], s[12:13], v[64:65]
	v_add_f64 v[74:75], v[114:115], v[32:33]
	v_fma_f64 v[64:65], -0.5, v[134:135], v[90:91]
	v_add_f64 v[32:33], v[82:83], -v[98:99]
	v_add_f64 v[72:73], v[0:1], -v[4:5]
	;; [unrolled: 1-line block ×3, first 2 shown]
	v_fmac_f64_e32 v[62:63], s[4:5], v[60:61]
	v_fmac_f64_e32 v[66:67], s[18:19], v[60:61]
	v_fma_f64 v[60:61], s[10:11], v[32:33], v[64:65]
	v_add_f64 v[44:45], v[110:111], -v[114:115]
	v_fmac_f64_e32 v[64:65], s[14:15], v[32:33]
	v_add_f64 v[68:69], v[72:73], v[92:93]
	v_fmac_f64_e32 v[60:61], s[18:19], v[44:45]
	v_fmac_f64_e32 v[64:65], s[4:5], v[44:45]
	;; [unrolled: 1-line block ×6, first 2 shown]
	v_add_f64 v[56:57], v[4:5], -v[0:1]
	v_add_f64 v[68:69], v[28:29], -v[8:9]
	v_add_f64 v[4:5], v[90:91], v[4:5]
	v_add_f64 v[72:73], v[56:57], v[68:69]
	;; [unrolled: 1-line block ×4, first 2 shown]
	v_lshl_add_u64 v[4:5], v[116:117], 4, s[8:9]
	v_add_f64 v[0:1], v[0:1], v[8:9]
	v_lshl_add_u64 v[8:9], v[4:5], 0, s[0:1]
	ds_read2_b64 v[134:137], v188 offset0:83 offset1:208
	ds_read2_b64 v[138:141], v186 offset0:101 offset1:226
	;; [unrolled: 1-line block ×3, first 2 shown]
	global_load_dwordx4 v[146:149], v[8:9], off offset:32
	global_load_dwordx4 v[150:153], v[8:9], off offset:16
	ds_read2_b64 v[154:157], v185 offset0:47 offset1:172
	v_fma_f64 v[68:69], -0.5, v[56:57], v[90:91]
	v_fma_f64 v[56:57], s[14:15], v[44:45], v[68:69]
	v_fmac_f64_e32 v[68:69], s[10:11], v[44:45]
	v_fmac_f64_e32 v[56:57], s[18:19], v[32:33]
	;; [unrolled: 1-line block ×5, first 2 shown]
	v_add_f64 v[72:73], v[0:1], v[28:29]
	s_waitcnt vmcnt(4) lgkmcnt(3)
	v_mul_f64 v[0:1], v[84:85], v[136:137]
	s_waitcnt vmcnt(3) lgkmcnt(2)
	v_mul_f64 v[28:29], v[102:103], v[140:141]
	s_waitcnt lgkmcnt(1)
	v_mul_f64 v[92:93], v[78:79], v[144:145]
	s_waitcnt vmcnt(2) lgkmcnt(0)
	v_mul_f64 v[98:99], v[106:107], v[156:157]
	v_add_co_u32_e32 v4, vcc, s20, v4
	v_fmac_f64_e32 v[0:1], v[42:43], v[86:87]
	v_fmac_f64_e32 v[28:29], v[54:55], v[104:105]
	;; [unrolled: 1-line block ×3, first 2 shown]
	v_addc_co_u32_e32 v5, vcc, 0, v5, vcc
	v_fmac_f64_e32 v[98:99], v[50:51], v[108:109]
	v_add_f64 v[32:33], v[0:1], -v[28:29]
	global_load_dwordx4 v[158:161], v[4:5], off offset:3760
	v_add_f64 v[4:5], v[92:93], -v[98:99]
	v_add_f64 v[4:5], v[32:33], v[4:5]
	v_mul_f64 v[32:33], v[104:105], v[140:141]
	v_fma_f64 v[32:33], v[54:55], v[102:103], -v[32:33]
	global_load_dwordx4 v[102:105], v[8:9], off offset:48
	v_add_u32_e32 v8, v183, v76
	ds_read_b64 v[8:9], v8
	v_mul_f64 v[44:45], v[108:109], v[156:157]
	v_fma_f64 v[50:51], v[50:51], v[106:107], -v[44:45]
	v_add_f64 v[44:45], v[28:29], v[98:99]
	v_add_f64 v[54:55], v[32:33], -v[50:51]
	s_waitcnt lgkmcnt(0)
	v_fma_f64 v[82:83], -0.5, v[44:45], v[8:9]
	v_mul_f64 v[44:45], v[86:87], v[136:137]
	v_fma_f64 v[106:107], v[42:43], v[84:85], -v[44:45]
	v_mul_f64 v[42:43], v[80:81], v[144:145]
	v_fma_f64 v[38:39], v[38:39], v[78:79], -v[42:43]
	v_add_f64 v[42:43], v[106:107], -v[38:39]
	v_fma_f64 v[78:79], s[14:15], v[42:43], v[82:83]
	v_fmac_f64_e32 v[82:83], s[10:11], v[42:43]
	v_fmac_f64_e32 v[78:79], s[4:5], v[54:55]
	;; [unrolled: 1-line block ×5, first 2 shown]
	v_add_f64 v[4:5], v[28:29], -v[0:1]
	v_add_f64 v[44:45], v[98:99], -v[92:93]
	v_add_f64 v[4:5], v[4:5], v[44:45]
	v_add_f64 v[44:45], v[0:1], v[92:93]
	v_fma_f64 v[86:87], -0.5, v[44:45], v[8:9]
	v_fma_f64 v[44:45], s[10:11], v[54:55], v[86:87]
	v_fmac_f64_e32 v[86:87], s[14:15], v[54:55]
	v_fmac_f64_e32 v[44:45], s[4:5], v[42:43]
	;; [unrolled: 1-line block ×5, first 2 shown]
	v_add_f64 v[4:5], v[28:29], v[8:9]
	v_add_f64 v[4:5], v[0:1], v[4:5]
	;; [unrolled: 1-line block ×4, first 2 shown]
	v_add_f64 v[4:5], v[106:107], -v[32:33]
	v_add_f64 v[8:9], v[38:39], -v[50:51]
	v_add_f64 v[4:5], v[4:5], v[8:9]
	v_add_f64 v[8:9], v[32:33], v[50:51]
	v_fma_f64 v[80:81], -0.5, v[8:9], v[88:89]
	v_add_f64 v[0:1], v[0:1], -v[92:93]
	v_fma_f64 v[76:77], s[10:11], v[0:1], v[80:81]
	v_add_f64 v[8:9], v[28:29], -v[98:99]
	v_fmac_f64_e32 v[80:81], s[14:15], v[0:1]
	v_fmac_f64_e32 v[76:77], s[18:19], v[8:9]
	;; [unrolled: 1-line block ×5, first 2 shown]
	v_add_f64 v[4:5], v[32:33], -v[106:107]
	v_add_f64 v[28:29], v[50:51], -v[38:39]
	v_add_f64 v[4:5], v[4:5], v[28:29]
	v_add_f64 v[28:29], v[106:107], v[38:39]
	v_fma_f64 v[84:85], -0.5, v[28:29], v[88:89]
	v_fma_f64 v[42:43], s[14:15], v[8:9], v[84:85]
	v_fmac_f64_e32 v[84:85], s[10:11], v[8:9]
	v_fmac_f64_e32 v[42:43], s[18:19], v[0:1]
	;; [unrolled: 1-line block ×3, first 2 shown]
	v_lshlrev_b32_e32 v116, 2, v174
	v_fmac_f64_e32 v[42:43], s[12:13], v[4:5]
	v_fmac_f64_e32 v[84:85], s[12:13], v[4:5]
	v_lshl_add_u64 v[4:5], v[116:117], 4, s[8:9]
	v_lshl_add_u64 v[8:9], v[4:5], 0, s[0:1]
	v_add_co_u32_e32 v4, vcc, s20, v4
	global_load_dwordx4 v[108:111], v[8:9], off offset:32
	global_load_dwordx4 v[162:165], v[8:9], off offset:16
	v_addc_co_u32_e32 v5, vcc, 0, v5, vcc
	global_load_dwordx4 v[166:169], v[4:5], off offset:3760
	global_load_dwordx4 v[184:187], v[8:9], off offset:48
	v_add_f64 v[0:1], v[88:89], v[32:33]
	v_add_f64 v[0:1], v[106:107], v[0:1]
	v_add_f64 v[0:1], v[0:1], v[38:39]
	v_add_f64 v[88:89], v[0:1], v[50:51]
	s_waitcnt vmcnt(6)
	v_mul_f64 v[0:1], v[150:151], v[134:135]
	v_mul_f64 v[32:33], v[146:147], v[142:143]
	v_fmac_f64_e32 v[0:1], v[40:41], v[152:153]
	s_waitcnt vmcnt(5)
	v_mul_f64 v[4:5], v[158:159], v[138:139]
	v_fmac_f64_e32 v[4:5], v[52:53], v[160:161]
	v_fmac_f64_e32 v[32:33], v[36:37], v[148:149]
	v_add_f64 v[28:29], v[0:1], -v[4:5]
	v_lshlrev_b32_e32 v116, 2, v173
	s_waitcnt vmcnt(4)
	v_mul_f64 v[8:9], v[102:103], v[154:155]
	v_fmac_f64_e32 v[8:9], v[48:49], v[104:105]
	v_add_f64 v[38:39], v[32:33], -v[8:9]
	v_add_f64 v[28:29], v[28:29], v[38:39]
	v_mul_f64 v[38:39], v[160:161], v[138:139]
	v_fma_f64 v[106:107], v[52:53], v[158:159], -v[38:39]
	v_add_u32_e32 v38, v178, v94
	ds_read_b64 v[52:53], v38
	v_mul_f64 v[38:39], v[104:105], v[154:155]
	v_fma_f64 v[102:103], v[48:49], v[102:103], -v[38:39]
	v_add_f64 v[38:39], v[4:5], v[8:9]
	v_add_f64 v[48:49], v[106:107], -v[102:103]
	s_waitcnt lgkmcnt(0)
	v_fma_f64 v[54:55], -0.5, v[38:39], v[52:53]
	v_mul_f64 v[38:39], v[152:153], v[134:135]
	v_fma_f64 v[40:41], v[40:41], v[150:151], -v[38:39]
	v_mul_f64 v[38:39], v[148:149], v[142:143]
	v_fma_f64 v[104:105], v[36:37], v[146:147], -v[38:39]
	v_add_f64 v[36:37], v[40:41], -v[104:105]
	v_fma_f64 v[50:51], s[14:15], v[36:37], v[54:55]
	v_fmac_f64_e32 v[54:55], s[10:11], v[36:37]
	v_fmac_f64_e32 v[50:51], s[4:5], v[48:49]
	;; [unrolled: 1-line block ×5, first 2 shown]
	v_add_f64 v[28:29], v[4:5], -v[0:1]
	v_add_f64 v[38:39], v[8:9], -v[32:33]
	v_add_f64 v[28:29], v[28:29], v[38:39]
	v_add_f64 v[38:39], v[0:1], v[32:33]
	v_fma_f64 v[94:95], -0.5, v[38:39], v[52:53]
	v_fma_f64 v[38:39], s[10:11], v[48:49], v[94:95]
	v_fmac_f64_e32 v[94:95], s[14:15], v[48:49]
	v_fmac_f64_e32 v[38:39], s[4:5], v[36:37]
	;; [unrolled: 1-line block ×5, first 2 shown]
	v_add_f64 v[28:29], v[4:5], v[52:53]
	v_add_f64 v[28:29], v[0:1], v[28:29]
	;; [unrolled: 1-line block ×4, first 2 shown]
	v_add_f64 v[28:29], v[40:41], -v[106:107]
	v_add_f64 v[36:37], v[104:105], -v[102:103]
	v_add_f64 v[28:29], v[28:29], v[36:37]
	v_add_f64 v[36:37], v[106:107], v[102:103]
	v_fma_f64 v[52:53], -0.5, v[36:37], v[96:97]
	v_add_f64 v[0:1], v[0:1], -v[32:33]
	v_fma_f64 v[48:49], s[10:11], v[0:1], v[52:53]
	v_add_f64 v[4:5], v[4:5], -v[8:9]
	v_fmac_f64_e32 v[52:53], s[14:15], v[0:1]
	v_fmac_f64_e32 v[48:49], s[18:19], v[4:5]
	;; [unrolled: 1-line block ×5, first 2 shown]
	v_add_f64 v[8:9], v[106:107], -v[40:41]
	v_add_f64 v[28:29], v[102:103], -v[104:105]
	v_add_f64 v[8:9], v[8:9], v[28:29]
	v_add_f64 v[28:29], v[40:41], v[104:105]
	v_fma_f64 v[92:93], -0.5, v[28:29], v[96:97]
	ds_read2_b64 v[132:135], v182 offset0:89 offset1:214
	ds_read2_b64 v[136:139], v179 offset0:107 offset1:232
	;; [unrolled: 1-line block ×4, first 2 shown]
	v_fma_f64 v[36:37], s[14:15], v[4:5], v[92:93]
	v_fmac_f64_e32 v[92:93], s[10:11], v[4:5]
	v_fmac_f64_e32 v[36:37], s[18:19], v[0:1]
	;; [unrolled: 1-line block ×3, first 2 shown]
	v_add_f64 v[0:1], v[96:97], v[106:107]
	v_add_f64 v[0:1], v[40:41], v[0:1]
	;; [unrolled: 1-line block ×3, first 2 shown]
	v_lshl_add_u64 v[28:29], v[116:117], 4, s[8:9]
	v_add_f64 v[96:97], v[0:1], v[102:103]
	s_waitcnt vmcnt(2) lgkmcnt(3)
	v_mul_f64 v[0:1], v[162:163], v[134:135]
	s_waitcnt vmcnt(1) lgkmcnt(2)
	v_mul_f64 v[4:5], v[166:167], v[138:139]
	s_waitcnt lgkmcnt(1)
	v_mul_f64 v[32:33], v[108:109], v[142:143]
	s_waitcnt vmcnt(0) lgkmcnt(0)
	v_mul_f64 v[40:41], v[184:185], v[146:147]
	v_lshl_add_u64 v[102:103], v[28:29], 0, s[0:1]
	v_add_co_u32_e32 v28, vcc, s20, v28
	v_fmac_f64_e32 v[0:1], v[18:19], v[164:165]
	v_fmac_f64_e32 v[4:5], v[26:27], v[168:169]
	;; [unrolled: 1-line block ×3, first 2 shown]
	v_addc_co_u32_e32 v29, vcc, 0, v29, vcc
	v_fmac_f64_e32 v[40:41], v[22:23], v[186:187]
	v_fmac_f64_e32 v[36:37], s[12:13], v[8:9]
	;; [unrolled: 1-line block ×3, first 2 shown]
	v_add_f64 v[8:9], v[0:1], -v[4:5]
	global_load_dwordx4 v[148:151], v[102:103], off offset:32
	global_load_dwordx4 v[152:155], v[102:103], off offset:16
	;; [unrolled: 1-line block ×3, first 2 shown]
	v_add_f64 v[28:29], v[32:33], -v[40:41]
	v_add_f64 v[8:9], v[8:9], v[28:29]
	v_mul_f64 v[28:29], v[168:169], v[138:139]
	v_fma_f64 v[138:139], v[26:27], v[166:167], -v[28:29]
	global_load_dwordx4 v[166:169], v[102:103], off offset:48
	v_add_u32_e32 v26, v177, v100
	ds_read_b64 v[26:27], v26
	v_mul_f64 v[28:29], v[186:187], v[146:147]
	v_fma_f64 v[22:23], v[22:23], v[184:185], -v[28:29]
	v_add_f64 v[28:29], v[4:5], v[40:41]
	v_add_f64 v[100:101], v[138:139], -v[22:23]
	s_waitcnt lgkmcnt(0)
	v_fma_f64 v[106:107], -0.5, v[28:29], v[26:27]
	v_mul_f64 v[28:29], v[164:165], v[134:135]
	v_fma_f64 v[18:19], v[18:19], v[162:163], -v[28:29]
	v_mul_f64 v[28:29], v[110:111], v[142:143]
	v_fma_f64 v[14:15], v[14:15], v[108:109], -v[28:29]
	v_add_f64 v[104:105], v[18:19], -v[14:15]
	v_fma_f64 v[102:103], s[14:15], v[104:105], v[106:107]
	v_fmac_f64_e32 v[106:107], s[10:11], v[104:105]
	v_fmac_f64_e32 v[102:103], s[4:5], v[100:101]
	;; [unrolled: 1-line block ×5, first 2 shown]
	v_add_f64 v[8:9], v[4:5], -v[0:1]
	v_add_f64 v[28:29], v[40:41], -v[32:33]
	v_add_f64 v[8:9], v[8:9], v[28:29]
	v_add_f64 v[28:29], v[0:1], v[32:33]
	v_fma_f64 v[110:111], -0.5, v[28:29], v[26:27]
	v_fma_f64 v[28:29], s[10:11], v[100:101], v[110:111]
	v_fmac_f64_e32 v[110:111], s[14:15], v[100:101]
	v_fmac_f64_e32 v[28:29], s[4:5], v[104:105]
	;; [unrolled: 1-line block ×5, first 2 shown]
	v_add_f64 v[8:9], v[4:5], v[26:27]
	v_add_f64 v[8:9], v[0:1], v[8:9]
	;; [unrolled: 1-line block ×4, first 2 shown]
	v_add_f64 v[8:9], v[18:19], -v[138:139]
	v_add_f64 v[26:27], v[14:15], -v[22:23]
	v_add_f64 v[8:9], v[8:9], v[26:27]
	v_add_f64 v[26:27], v[138:139], v[22:23]
	v_fma_f64 v[104:105], -0.5, v[26:27], v[112:113]
	v_add_f64 v[0:1], v[0:1], -v[32:33]
	v_fma_f64 v[100:101], s[10:11], v[0:1], v[104:105]
	v_add_f64 v[4:5], v[4:5], -v[40:41]
	v_fmac_f64_e32 v[104:105], s[14:15], v[0:1]
	v_fmac_f64_e32 v[100:101], s[18:19], v[4:5]
	;; [unrolled: 1-line block ×5, first 2 shown]
	v_add_f64 v[8:9], v[138:139], -v[18:19]
	v_add_f64 v[26:27], v[22:23], -v[14:15]
	v_add_f64 v[8:9], v[8:9], v[26:27]
	v_add_f64 v[26:27], v[18:19], v[14:15]
	v_fma_f64 v[108:109], -0.5, v[26:27], v[112:113]
	v_fma_f64 v[26:27], s[14:15], v[4:5], v[108:109]
	v_fmac_f64_e32 v[108:109], s[10:11], v[4:5]
	v_fmac_f64_e32 v[26:27], s[18:19], v[0:1]
	;; [unrolled: 1-line block ×3, first 2 shown]
	v_add_f64 v[0:1], v[112:113], v[138:139]
	v_add_f64 v[0:1], v[18:19], v[0:1]
	;; [unrolled: 1-line block ×3, first 2 shown]
	v_lshlrev_b32_e32 v116, 2, v172
	v_add_f64 v[112:113], v[0:1], v[22:23]
	v_lshl_add_u64 v[0:1], v[116:117], 4, s[8:9]
	v_lshl_add_u64 v[4:5], v[0:1], 0, s[0:1]
	v_add_co_u32_e32 v0, vcc, s20, v0
	global_load_dwordx4 v[160:163], v[4:5], off offset:32
	global_load_dwordx4 v[178:181], v[4:5], off offset:16
	v_addc_co_u32_e32 v1, vcc, 0, v1, vcc
	global_load_dwordx4 v[182:185], v[0:1], off offset:3760
	global_load_dwordx4 v[186:189], v[4:5], off offset:48
	v_fmac_f64_e32 v[26:27], s[12:13], v[8:9]
	v_fmac_f64_e32 v[108:109], s[12:13], v[8:9]
	s_mov_b32 s0, 0x57619f1
	s_waitcnt vmcnt(7)
	v_mul_f64 v[32:33], v[148:149], v[140:141]
	s_waitcnt vmcnt(6)
	v_mul_f64 v[0:1], v[152:153], v[132:133]
	;; [unrolled: 2-line block ×3, first 2 shown]
	v_fmac_f64_e32 v[0:1], v[16:17], v[154:155]
	v_fmac_f64_e32 v[8:9], v[24:25], v[158:159]
	;; [unrolled: 1-line block ×3, first 2 shown]
	v_add_f64 v[4:5], v[0:1], -v[8:9]
	s_waitcnt vmcnt(4)
	v_mul_f64 v[40:41], v[166:167], v[144:145]
	v_fmac_f64_e32 v[40:41], v[20:21], v[168:169]
	v_add_f64 v[14:15], v[32:33], -v[40:41]
	v_add_f64 v[4:5], v[4:5], v[14:15]
	v_mul_f64 v[14:15], v[158:159], v[136:137]
	v_fma_f64 v[24:25], v[24:25], v[156:157], -v[14:15]
	v_add_u32_e32 v14, v176, v129
	ds_read_b64 v[116:117], v14
	v_mul_f64 v[14:15], v[168:169], v[144:145]
	v_fma_f64 v[136:137], v[20:21], v[166:167], -v[14:15]
	v_add_f64 v[14:15], v[8:9], v[40:41]
	v_add_f64 v[20:21], v[24:25], -v[136:137]
	s_waitcnt lgkmcnt(0)
	v_fma_f64 v[22:23], -0.5, v[14:15], v[116:117]
	v_mul_f64 v[14:15], v[154:155], v[132:133]
	v_fma_f64 v[142:143], v[16:17], v[152:153], -v[14:15]
	v_mul_f64 v[14:15], v[150:151], v[140:141]
	v_fma_f64 v[140:141], v[12:13], v[148:149], -v[14:15]
	v_add_f64 v[12:13], v[142:143], -v[140:141]
	v_fma_f64 v[18:19], s[14:15], v[12:13], v[22:23]
	v_fmac_f64_e32 v[22:23], s[10:11], v[12:13]
	v_fmac_f64_e32 v[18:19], s[4:5], v[20:21]
	;; [unrolled: 1-line block ×5, first 2 shown]
	v_add_f64 v[4:5], v[8:9], -v[0:1]
	v_add_f64 v[14:15], v[40:41], -v[32:33]
	v_add_f64 v[4:5], v[4:5], v[14:15]
	v_add_f64 v[14:15], v[0:1], v[32:33]
	v_fma_f64 v[134:135], -0.5, v[14:15], v[116:117]
	v_fma_f64 v[14:15], s[10:11], v[20:21], v[134:135]
	v_fmac_f64_e32 v[134:135], s[14:15], v[20:21]
	v_fmac_f64_e32 v[14:15], s[4:5], v[12:13]
	;; [unrolled: 1-line block ×5, first 2 shown]
	v_add_f64 v[4:5], v[8:9], v[116:117]
	v_add_f64 v[4:5], v[0:1], v[4:5]
	;; [unrolled: 1-line block ×4, first 2 shown]
	v_add_f64 v[4:5], v[142:143], -v[24:25]
	v_add_f64 v[12:13], v[140:141], -v[136:137]
	v_add_f64 v[4:5], v[4:5], v[12:13]
	v_add_f64 v[12:13], v[24:25], v[136:137]
	v_fma_f64 v[20:21], -0.5, v[12:13], v[122:123]
	v_add_f64 v[0:1], v[0:1], -v[32:33]
	v_fma_f64 v[16:17], s[10:11], v[0:1], v[20:21]
	v_add_f64 v[8:9], v[8:9], -v[40:41]
	v_fmac_f64_e32 v[20:21], s[14:15], v[0:1]
	v_fmac_f64_e32 v[16:17], s[18:19], v[8:9]
	;; [unrolled: 1-line block ×5, first 2 shown]
	v_add_f64 v[4:5], v[24:25], -v[142:143]
	v_add_f64 v[12:13], v[136:137], -v[140:141]
	v_add_f64 v[4:5], v[4:5], v[12:13]
	v_add_f64 v[12:13], v[142:143], v[140:141]
	v_fma_f64 v[132:133], -0.5, v[12:13], v[122:123]
	v_fma_f64 v[12:13], s[14:15], v[8:9], v[132:133]
	v_fmac_f64_e32 v[132:133], s[10:11], v[8:9]
	v_fmac_f64_e32 v[12:13], s[18:19], v[0:1]
	;; [unrolled: 1-line block ×5, first 2 shown]
	v_add_u32_e32 v4, v175, v128
	ds_read_b64 v[4:5], v4
	v_add_f64 v[0:1], v[122:123], v[24:25]
	v_add_f64 v[0:1], v[142:143], v[0:1]
	v_add_f64 v[0:1], v[0:1], v[140:141]
	v_add_f64 v[136:137], v[0:1], v[136:137]
	s_waitcnt vmcnt(2)
	v_mul_f64 v[0:1], v[178:179], v[34:35]
	s_waitcnt vmcnt(1) lgkmcnt(0)
	v_mul_f64 v[24:25], v[182:183], v[4:5]
	v_mul_f64 v[40:41], v[160:161], v[30:31]
	s_waitcnt vmcnt(0)
	v_mul_f64 v[116:117], v[186:187], v[46:47]
	v_fmac_f64_e32 v[0:1], v[6:7], v[180:181]
	v_fmac_f64_e32 v[24:25], v[120:121], v[184:185]
	;; [unrolled: 1-line block ×4, first 2 shown]
	v_add_f64 v[8:9], v[0:1], -v[24:25]
	v_add_f64 v[32:33], v[40:41], -v[116:117]
	v_add_f64 v[32:33], v[8:9], v[32:33]
	v_mul_f64 v[4:5], v[184:185], v[4:5]
	v_mul_f64 v[8:9], v[180:181], v[34:35]
	v_fma_f64 v[140:141], v[120:121], v[182:183], -v[4:5]
	v_mul_f64 v[4:5], v[188:189], v[46:47]
	v_fma_f64 v[34:35], v[6:7], v[178:179], -v[8:9]
	;; [unrolled: 2-line block ×3, first 2 shown]
	v_add_f64 v[4:5], v[24:25], v[116:117]
	v_fma_f64 v[142:143], v[2:3], v[160:161], -v[6:7]
	v_fma_f64 v[4:5], -0.5, v[4:5], v[126:127]
	v_add_f64 v[2:3], v[34:35], -v[142:143]
	v_add_f64 v[46:47], v[140:141], -v[10:11]
	v_fma_f64 v[8:9], s[14:15], v[2:3], v[4:5]
	v_fmac_f64_e32 v[4:5], s[10:11], v[2:3]
	v_add_f64 v[6:7], v[24:25], -v[0:1]
	v_add_f64 v[30:31], v[116:117], -v[40:41]
	v_fmac_f64_e32 v[8:9], s[4:5], v[46:47]
	v_fmac_f64_e32 v[4:5], s[18:19], v[46:47]
	v_add_f64 v[6:7], v[6:7], v[30:31]
	v_add_f64 v[30:31], v[0:1], v[40:41]
	v_fmac_f64_e32 v[8:9], s[12:13], v[32:33]
	v_fmac_f64_e32 v[4:5], s[12:13], v[32:33]
	v_fma_f64 v[32:33], -0.5, v[30:31], v[126:127]
	v_fma_f64 v[122:123], s[10:11], v[46:47], v[32:33]
	v_fmac_f64_e32 v[32:33], s[14:15], v[46:47]
	v_fmac_f64_e32 v[122:123], s[4:5], v[2:3]
	;; [unrolled: 1-line block ×3, first 2 shown]
	v_add_f64 v[2:3], v[24:25], v[126:127]
	v_add_f64 v[2:3], v[0:1], v[2:3]
	;; [unrolled: 1-line block ×3, first 2 shown]
	v_fmac_f64_e32 v[122:123], s[12:13], v[6:7]
	v_fmac_f64_e32 v[32:33], s[12:13], v[6:7]
	v_add_f64 v[128:129], v[116:117], v[2:3]
	v_add_f64 v[2:3], v[34:35], -v[140:141]
	v_add_f64 v[6:7], v[142:143], -v[10:11]
	v_add_f64 v[30:31], v[2:3], v[6:7]
	v_add_f64 v[2:3], v[140:141], v[10:11]
	v_fma_f64 v[2:3], -0.5, v[2:3], v[118:119]
	v_add_f64 v[0:1], v[0:1], -v[40:41]
	v_fma_f64 v[6:7], s[10:11], v[0:1], v[2:3]
	v_add_f64 v[24:25], v[24:25], -v[116:117]
	v_fmac_f64_e32 v[2:3], s[14:15], v[0:1]
	v_fmac_f64_e32 v[6:7], s[18:19], v[24:25]
	v_fmac_f64_e32 v[2:3], s[4:5], v[24:25]
	v_fmac_f64_e32 v[6:7], s[12:13], v[30:31]
	v_fmac_f64_e32 v[2:3], s[12:13], v[30:31]
	v_add_f64 v[30:31], v[140:141], -v[34:35]
	v_add_f64 v[40:41], v[10:11], -v[142:143]
	v_add_f64 v[40:41], v[30:31], v[40:41]
	v_add_f64 v[30:31], v[34:35], v[142:143]
	v_fma_f64 v[30:31], -0.5, v[30:31], v[118:119]
	v_fma_f64 v[120:121], s[14:15], v[24:25], v[30:31]
	v_fmac_f64_e32 v[30:31], s[10:11], v[24:25]
	v_fmac_f64_e32 v[120:121], s[18:19], v[0:1]
	;; [unrolled: 1-line block ×3, first 2 shown]
	v_add_f64 v[0:1], v[118:119], v[140:141]
	v_add_f64 v[0:1], v[34:35], v[0:1]
	v_add_f64 v[0:1], v[0:1], v[142:143]
	v_add_f64 v[126:127], v[0:1], v[10:11]
	v_mul_hi_u32 v0, v172, s0
	v_lshrrev_b32_e32 v0, 4, v0
	v_mul_u32_u24_e32 v0, 0x2ee, v0
	v_sub_u32_e32 v34, v172, v0
	v_mad_u64_u32 v[10:11], s[2:3], s16, v34, 0
	v_mov_b32_e32 v0, v11
	v_mad_u64_u32 v[0:1], s[2:3], s17, v34, v[0:1]
	v_mov_b32_e32 v11, v0
	v_lshl_add_u64 v[0:1], v[124:125], 4, s[6:7]
	v_lshl_add_u64 v[0:1], v[130:131], 4, v[0:1]
	;; [unrolled: 1-line block ×3, first 2 shown]
	v_add_u32_e32 v25, 0x2ee, v34
	global_store_dwordx4 v[10:11], v[126:129], off
	v_mad_u64_u32 v[10:11], s[2:3], s16, v25, 0
	v_mov_b32_e32 v24, v11
	v_mad_u64_u32 v[24:25], s[2:3], s17, v25, v[24:25]
	v_mov_b32_e32 v11, v24
	v_fmac_f64_e32 v[30:31], s[12:13], v[40:41]
	v_lshl_add_u64 v[10:11], v[10:11], 4, v[0:1]
	v_add_u32_e32 v25, 0x5dc, v34
	global_store_dwordx4 v[10:11], v[30:33], off
	v_mad_u64_u32 v[10:11], s[2:3], s16, v25, 0
	v_mov_b32_e32 v24, v11
	v_mad_u64_u32 v[24:25], s[2:3], s17, v25, v[24:25]
	v_mov_b32_e32 v11, v24
	v_lshl_add_u64 v[10:11], v[10:11], 4, v[0:1]
	global_store_dwordx4 v[10:11], v[2:5], off
	v_fmac_f64_e32 v[120:121], s[12:13], v[40:41]
	s_movk_i32 s1, 0xea6
	v_add_u32_e32 v5, 0x8ca, v34
	v_mad_u64_u32 v[2:3], s[2:3], s16, v5, 0
	v_mov_b32_e32 v4, v3
	v_mad_u64_u32 v[4:5], s[2:3], s17, v5, v[4:5]
	v_mov_b32_e32 v3, v4
	v_lshl_add_u64 v[2:3], v[2:3], 4, v[0:1]
	v_add_u32_e32 v5, 0xbb8, v34
	global_store_dwordx4 v[2:3], v[6:9], off
	v_mad_u64_u32 v[2:3], s[2:3], s16, v5, 0
	v_mov_b32_e32 v4, v3
	v_mad_u64_u32 v[4:5], s[2:3], s17, v5, v[4:5]
	v_mov_b32_e32 v3, v4
	v_lshl_add_u64 v[2:3], v[2:3], 4, v[0:1]
	global_store_dwordx4 v[2:3], v[120:123], off
	v_add_u32_e32 v2, 0x7d, v172
	v_mul_hi_u32 v3, v2, s0
	v_lshrrev_b32_e32 v3, 4, v3
	v_mul_u32_u24_e32 v4, 0x2ee, v3
	v_sub_u32_e32 v2, v2, v4
	v_mad_u32_u24 v6, v3, s1, v2
	v_mad_u64_u32 v[2:3], s[2:3], s16, v6, 0
	v_mov_b32_e32 v4, v3
	v_mad_u64_u32 v[4:5], s[2:3], s17, v6, v[4:5]
	v_mov_b32_e32 v3, v4
	v_lshl_add_u64 v[2:3], v[2:3], 4, v[0:1]
	v_add_u32_e32 v5, 0x2ee, v6
	global_store_dwordx4 v[2:3], v[136:139], off
	v_mad_u64_u32 v[2:3], s[2:3], s16, v5, 0
	v_mov_b32_e32 v4, v3
	v_mad_u64_u32 v[4:5], s[2:3], s17, v5, v[4:5]
	v_mov_b32_e32 v3, v4
	v_lshl_add_u64 v[2:3], v[2:3], 4, v[0:1]
	v_add_u32_e32 v5, 0x5dc, v6
	global_store_dwordx4 v[2:3], v[132:135], off
	v_mad_u64_u32 v[2:3], s[2:3], s16, v5, 0
	v_mov_b32_e32 v4, v3
	v_mad_u64_u32 v[4:5], s[2:3], s17, v5, v[4:5]
	v_mov_b32_e32 v3, v4
	v_lshl_add_u64 v[2:3], v[2:3], 4, v[0:1]
	v_add_u32_e32 v5, 0x8ca, v6
	global_store_dwordx4 v[2:3], v[20:23], off
	v_mad_u64_u32 v[2:3], s[2:3], s16, v5, 0
	v_mov_b32_e32 v4, v3
	v_mad_u64_u32 v[4:5], s[2:3], s17, v5, v[4:5]
	v_mov_b32_e32 v3, v4
	v_lshl_add_u64 v[2:3], v[2:3], 4, v[0:1]
	v_add_u32_e32 v5, 0xbb8, v6
	global_store_dwordx4 v[2:3], v[16:19], off
	v_mad_u64_u32 v[2:3], s[2:3], s16, v5, 0
	v_mov_b32_e32 v4, v3
	v_mad_u64_u32 v[4:5], s[2:3], s17, v5, v[4:5]
	v_mov_b32_e32 v3, v4
	v_lshl_add_u64 v[2:3], v[2:3], 4, v[0:1]
	global_store_dwordx4 v[2:3], v[12:15], off
	v_add_u32_e32 v2, 0xfa, v172
	v_mul_hi_u32 v3, v2, s0
	v_lshrrev_b32_e32 v3, 4, v3
	v_mul_u32_u24_e32 v4, 0x2ee, v3
	v_sub_u32_e32 v2, v2, v4
	v_mad_u32_u24 v6, v3, s1, v2
	v_mad_u64_u32 v[2:3], s[2:3], s16, v6, 0
	v_mov_b32_e32 v4, v3
	v_mad_u64_u32 v[4:5], s[2:3], s17, v6, v[4:5]
	v_mov_b32_e32 v3, v4
	v_lshl_add_u64 v[2:3], v[2:3], 4, v[0:1]
	v_add_u32_e32 v5, 0x2ee, v6
	global_store_dwordx4 v[2:3], v[112:115], off
	v_mad_u64_u32 v[2:3], s[2:3], s16, v5, 0
	v_mov_b32_e32 v4, v3
	v_mad_u64_u32 v[4:5], s[2:3], s17, v5, v[4:5]
	v_mov_b32_e32 v3, v4
	v_lshl_add_u64 v[2:3], v[2:3], 4, v[0:1]
	v_add_u32_e32 v5, 0x5dc, v6
	global_store_dwordx4 v[2:3], v[108:111], off
	v_mad_u64_u32 v[2:3], s[2:3], s16, v5, 0
	v_mov_b32_e32 v4, v3
	v_mad_u64_u32 v[4:5], s[2:3], s17, v5, v[4:5]
	v_mov_b32_e32 v3, v4
	v_lshl_add_u64 v[2:3], v[2:3], 4, v[0:1]
	v_add_u32_e32 v5, 0x8ca, v6
	global_store_dwordx4 v[2:3], v[104:107], off
	;; [unrolled: 40-line block ×5, first 2 shown]
	v_mad_u64_u32 v[2:3], s[0:1], s16, v5, 0
	v_mov_b32_e32 v4, v3
	v_mad_u64_u32 v[4:5], s[0:1], s17, v5, v[4:5]
	v_mov_b32_e32 v3, v4
	v_lshl_add_u64 v[2:3], v[2:3], 4, v[0:1]
	v_add_u32_e32 v5, 0xbb8, v6
	global_store_dwordx4 v[2:3], v[60:63], off
	v_mad_u64_u32 v[2:3], s[0:1], s16, v5, 0
	v_mov_b32_e32 v4, v3
	v_mad_u64_u32 v[4:5], s[0:1], s17, v5, v[4:5]
	v_mov_b32_e32 v3, v4
	v_lshl_add_u64 v[0:1], v[2:3], 4, v[0:1]
	global_store_dwordx4 v[0:1], v[56:59], off
.LBB0_15:
	s_endpgm
	.section	.rodata,"a",@progbits
	.p2align	6, 0x0
	.amdhsa_kernel fft_rtc_fwd_len3750_factors_3_5_5_10_5_wgs_125_tpt_125_halfLds_dp_op_CI_CI_sbrr_dirReg
		.amdhsa_group_segment_fixed_size 0
		.amdhsa_private_segment_fixed_size 0
		.amdhsa_kernarg_size 104
		.amdhsa_user_sgpr_count 2
		.amdhsa_user_sgpr_dispatch_ptr 0
		.amdhsa_user_sgpr_queue_ptr 0
		.amdhsa_user_sgpr_kernarg_segment_ptr 1
		.amdhsa_user_sgpr_dispatch_id 0
		.amdhsa_user_sgpr_kernarg_preload_length 0
		.amdhsa_user_sgpr_kernarg_preload_offset 0
		.amdhsa_user_sgpr_private_segment_size 0
		.amdhsa_uses_dynamic_stack 0
		.amdhsa_enable_private_segment 0
		.amdhsa_system_sgpr_workgroup_id_x 1
		.amdhsa_system_sgpr_workgroup_id_y 0
		.amdhsa_system_sgpr_workgroup_id_z 0
		.amdhsa_system_sgpr_workgroup_info 0
		.amdhsa_system_vgpr_workitem_id 0
		.amdhsa_next_free_vgpr 242
		.amdhsa_next_free_sgpr 32
		.amdhsa_accum_offset 244
		.amdhsa_reserve_vcc 1
		.amdhsa_float_round_mode_32 0
		.amdhsa_float_round_mode_16_64 0
		.amdhsa_float_denorm_mode_32 3
		.amdhsa_float_denorm_mode_16_64 3
		.amdhsa_dx10_clamp 1
		.amdhsa_ieee_mode 1
		.amdhsa_fp16_overflow 0
		.amdhsa_tg_split 0
		.amdhsa_exception_fp_ieee_invalid_op 0
		.amdhsa_exception_fp_denorm_src 0
		.amdhsa_exception_fp_ieee_div_zero 0
		.amdhsa_exception_fp_ieee_overflow 0
		.amdhsa_exception_fp_ieee_underflow 0
		.amdhsa_exception_fp_ieee_inexact 0
		.amdhsa_exception_int_div_zero 0
	.end_amdhsa_kernel
	.text
.Lfunc_end0:
	.size	fft_rtc_fwd_len3750_factors_3_5_5_10_5_wgs_125_tpt_125_halfLds_dp_op_CI_CI_sbrr_dirReg, .Lfunc_end0-fft_rtc_fwd_len3750_factors_3_5_5_10_5_wgs_125_tpt_125_halfLds_dp_op_CI_CI_sbrr_dirReg
                                        ; -- End function
	.section	.AMDGPU.csdata,"",@progbits
; Kernel info:
; codeLenInByte = 23104
; NumSgprs: 38
; NumVgprs: 242
; NumAgprs: 0
; TotalNumVgprs: 242
; ScratchSize: 0
; MemoryBound: 1
; FloatMode: 240
; IeeeMode: 1
; LDSByteSize: 0 bytes/workgroup (compile time only)
; SGPRBlocks: 4
; VGPRBlocks: 30
; NumSGPRsForWavesPerEU: 38
; NumVGPRsForWavesPerEU: 242
; AccumOffset: 244
; Occupancy: 2
; WaveLimiterHint : 1
; COMPUTE_PGM_RSRC2:SCRATCH_EN: 0
; COMPUTE_PGM_RSRC2:USER_SGPR: 2
; COMPUTE_PGM_RSRC2:TRAP_HANDLER: 0
; COMPUTE_PGM_RSRC2:TGID_X_EN: 1
; COMPUTE_PGM_RSRC2:TGID_Y_EN: 0
; COMPUTE_PGM_RSRC2:TGID_Z_EN: 0
; COMPUTE_PGM_RSRC2:TIDIG_COMP_CNT: 0
; COMPUTE_PGM_RSRC3_GFX90A:ACCUM_OFFSET: 60
; COMPUTE_PGM_RSRC3_GFX90A:TG_SPLIT: 0
	.text
	.p2alignl 6, 3212836864
	.fill 256, 4, 3212836864
	.type	__hip_cuid_384e32a0c6eaa966,@object ; @__hip_cuid_384e32a0c6eaa966
	.section	.bss,"aw",@nobits
	.globl	__hip_cuid_384e32a0c6eaa966
__hip_cuid_384e32a0c6eaa966:
	.byte	0                               ; 0x0
	.size	__hip_cuid_384e32a0c6eaa966, 1

	.ident	"AMD clang version 19.0.0git (https://github.com/RadeonOpenCompute/llvm-project roc-6.4.0 25133 c7fe45cf4b819c5991fe208aaa96edf142730f1d)"
	.section	".note.GNU-stack","",@progbits
	.addrsig
	.addrsig_sym __hip_cuid_384e32a0c6eaa966
	.amdgpu_metadata
---
amdhsa.kernels:
  - .agpr_count:     0
    .args:
      - .actual_access:  read_only
        .address_space:  global
        .offset:         0
        .size:           8
        .value_kind:     global_buffer
      - .offset:         8
        .size:           8
        .value_kind:     by_value
      - .actual_access:  read_only
        .address_space:  global
        .offset:         16
        .size:           8
        .value_kind:     global_buffer
      - .actual_access:  read_only
        .address_space:  global
        .offset:         24
        .size:           8
        .value_kind:     global_buffer
      - .actual_access:  read_only
        .address_space:  global
        .offset:         32
        .size:           8
        .value_kind:     global_buffer
      - .offset:         40
        .size:           8
        .value_kind:     by_value
      - .actual_access:  read_only
        .address_space:  global
        .offset:         48
        .size:           8
        .value_kind:     global_buffer
      - .actual_access:  read_only
        .address_space:  global
        .offset:         56
        .size:           8
        .value_kind:     global_buffer
      - .offset:         64
        .size:           4
        .value_kind:     by_value
      - .actual_access:  read_only
        .address_space:  global
        .offset:         72
        .size:           8
        .value_kind:     global_buffer
      - .actual_access:  read_only
        .address_space:  global
        .offset:         80
        .size:           8
        .value_kind:     global_buffer
      - .actual_access:  read_only
        .address_space:  global
        .offset:         88
        .size:           8
        .value_kind:     global_buffer
      - .actual_access:  write_only
        .address_space:  global
        .offset:         96
        .size:           8
        .value_kind:     global_buffer
    .group_segment_fixed_size: 0
    .kernarg_segment_align: 8
    .kernarg_segment_size: 104
    .language:       OpenCL C
    .language_version:
      - 2
      - 0
    .max_flat_workgroup_size: 125
    .name:           fft_rtc_fwd_len3750_factors_3_5_5_10_5_wgs_125_tpt_125_halfLds_dp_op_CI_CI_sbrr_dirReg
    .private_segment_fixed_size: 0
    .sgpr_count:     38
    .sgpr_spill_count: 0
    .symbol:         fft_rtc_fwd_len3750_factors_3_5_5_10_5_wgs_125_tpt_125_halfLds_dp_op_CI_CI_sbrr_dirReg.kd
    .uniform_work_group_size: 1
    .uses_dynamic_stack: false
    .vgpr_count:     242
    .vgpr_spill_count: 0
    .wavefront_size: 64
amdhsa.target:   amdgcn-amd-amdhsa--gfx950
amdhsa.version:
  - 1
  - 2
...

	.end_amdgpu_metadata
